;; amdgpu-corpus repo=ROCm/rocFFT kind=compiled arch=gfx906 opt=O3
	.text
	.amdgcn_target "amdgcn-amd-amdhsa--gfx906"
	.amdhsa_code_object_version 6
	.protected	bluestein_single_fwd_len1650_dim1_half_op_CI_CI ; -- Begin function bluestein_single_fwd_len1650_dim1_half_op_CI_CI
	.globl	bluestein_single_fwd_len1650_dim1_half_op_CI_CI
	.p2align	8
	.type	bluestein_single_fwd_len1650_dim1_half_op_CI_CI,@function
bluestein_single_fwd_len1650_dim1_half_op_CI_CI: ; @bluestein_single_fwd_len1650_dim1_half_op_CI_CI
; %bb.0:
	s_load_dwordx4 s[0:3], s[4:5], 0x28
	v_mul_u32_u24_e32 v1, 0x254, v0
	v_add_u32_sdwa v26, s6, v1 dst_sel:DWORD dst_unused:UNUSED_PAD src0_sel:DWORD src1_sel:WORD_1
	v_mov_b32_e32 v27, 0
	s_waitcnt lgkmcnt(0)
	v_cmp_gt_u64_e32 vcc, s[0:1], v[26:27]
	s_and_saveexec_b64 s[0:1], vcc
	s_cbranch_execz .LBB0_23
; %bb.1:
	s_load_dwordx4 s[16:19], s[4:5], 0x18
	s_movk_i32 s0, 0x6e
	v_mul_lo_u16_sdwa v1, v1, s0 dst_sel:DWORD dst_unused:UNUSED_PAD src0_sel:WORD_1 src1_sel:DWORD
	v_sub_u16_e32 v68, v0, v1
	v_lshlrev_b32_e32 v57, 2, v68
	s_waitcnt lgkmcnt(0)
	s_load_dwordx4 s[12:15], s[16:17], 0x0
	s_waitcnt lgkmcnt(0)
	v_mad_u64_u32 v[0:1], s[0:1], s14, v26, 0
	v_mad_u64_u32 v[2:3], s[0:1], s12, v68, 0
	s_load_dwordx2 s[16:17], s[4:5], 0x0
	v_mad_u64_u32 v[4:5], s[0:1], s15, v26, v[1:2]
	s_waitcnt lgkmcnt(0)
	global_load_dword v69, v57, s[16:17]
	v_mad_u64_u32 v[5:6], s[0:1], s13, v68, v[3:4]
	v_mov_b32_e32 v1, v4
	v_lshlrev_b64 v[0:1], 2, v[0:1]
	v_mov_b32_e32 v6, s3
	v_mov_b32_e32 v3, v5
	v_add_co_u32_e32 v4, vcc, s2, v0
	v_addc_co_u32_e32 v5, vcc, v6, v1, vcc
	v_lshlrev_b64 v[0:1], 2, v[2:3]
	s_mul_i32 s0, s13, 0x96
	v_add_co_u32_e32 v0, vcc, v4, v0
	v_addc_co_u32_e32 v1, vcc, v5, v1, vcc
	s_mul_hi_u32 s1, s12, 0x96
	global_load_dword v4, v[0:1], off
	v_mov_b32_e32 v2, s17
	v_add_co_u32_e64 v24, s[2:3], s16, v57
	s_add_i32 s1, s1, s0
	s_mul_i32 s0, s12, 0x96
	v_addc_co_u32_e64 v25, vcc, 0, v2, s[2:3]
	s_lshl_b64 s[6:7], s[0:1], 2
	v_mov_b32_e32 v5, s7
	v_add_co_u32_e32 v0, vcc, s6, v0
	v_addc_co_u32_e32 v1, vcc, v1, v5, vcc
	global_load_dword v6, v[0:1], off
	global_load_dword v67, v57, s[16:17] offset:600
	v_add_co_u32_e32 v0, vcc, s6, v0
	v_addc_co_u32_e32 v1, vcc, v1, v5, vcc
	global_load_dword v7, v[0:1], off
	global_load_dword v66, v57, s[16:17] offset:1200
	;; [unrolled: 4-line block ×5, first 2 shown]
	v_add_co_u32_e32 v0, vcc, s6, v0
	v_addc_co_u32_e32 v1, vcc, v1, v5, vcc
	v_add_co_u32_e32 v2, vcc, s6, v0
	global_load_dword v11, v[0:1], off
	global_load_dword v62, v57, s[16:17] offset:3600
	v_addc_co_u32_e32 v3, vcc, v1, v5, vcc
	s_movk_i32 s0, 0x1000
	v_add_co_u32_e32 v0, vcc, s0, v24
	global_load_dword v12, v[2:3], off
	v_addc_co_u32_e32 v1, vcc, 0, v25, vcc
	global_load_dword v61, v[0:1], off offset:104
	v_add_co_u32_e32 v2, vcc, s6, v2
	v_addc_co_u32_e32 v3, vcc, v3, v5, vcc
	global_load_dword v13, v[2:3], off
	global_load_dword v60, v[0:1], off offset:704
	v_add_co_u32_e32 v2, vcc, s6, v2
	v_addc_co_u32_e32 v3, vcc, v3, v5, vcc
	global_load_dword v14, v[2:3], off
	;; [unrolled: 4-line block ×3, first 2 shown]
	global_load_dword v58, v[0:1], off offset:1904
	s_load_dwordx2 s[14:15], s[4:5], 0x38
	s_load_dwordx4 s[8:11], s[18:19], 0x0
	v_cmp_gt_u16_e64 s[0:1], 40, v68
	s_waitcnt vmcnt(20)
	v_lshrrev_b32_e32 v5, 16, v4
	v_mul_f16_sdwa v16, v69, v5 dst_sel:DWORD dst_unused:UNUSED_PAD src0_sel:WORD_1 src1_sel:DWORD
	v_fma_f16 v16, v69, v4, v16
	v_mul_f16_sdwa v4, v69, v4 dst_sel:DWORD dst_unused:UNUSED_PAD src0_sel:WORD_1 src1_sel:DWORD
	v_fma_f16 v4, v69, v5, -v4
	v_pack_b32_f16 v4, v16, v4
	s_waitcnt vmcnt(19)
	v_lshrrev_b32_e32 v5, 16, v6
	s_waitcnt vmcnt(18)
	v_mul_f16_sdwa v16, v67, v5 dst_sel:DWORD dst_unused:UNUSED_PAD src0_sel:WORD_1 src1_sel:DWORD
	v_fma_f16 v16, v67, v6, v16
	v_mul_f16_sdwa v6, v67, v6 dst_sel:DWORD dst_unused:UNUSED_PAD src0_sel:WORD_1 src1_sel:DWORD
	v_fma_f16 v5, v67, v5, -v6
	v_pack_b32_f16 v5, v16, v5
	ds_write2_b32 v57, v4, v5 offset1:150
	s_waitcnt vmcnt(17)
	v_lshrrev_b32_e32 v4, 16, v7
	s_waitcnt vmcnt(16)
	v_mul_f16_sdwa v5, v66, v4 dst_sel:DWORD dst_unused:UNUSED_PAD src0_sel:WORD_1 src1_sel:DWORD
	v_mul_f16_sdwa v6, v66, v7 dst_sel:DWORD dst_unused:UNUSED_PAD src0_sel:WORD_1 src1_sel:DWORD
	v_fma_f16 v5, v66, v7, v5
	v_fma_f16 v4, v66, v4, -v6
	v_pack_b32_f16 v5, v5, v4
	s_waitcnt vmcnt(15)
	v_lshrrev_b32_e32 v4, 16, v8
	s_waitcnt vmcnt(14)
	v_mul_f16_sdwa v6, v65, v4 dst_sel:DWORD dst_unused:UNUSED_PAD src0_sel:WORD_1 src1_sel:DWORD
	v_mul_f16_sdwa v7, v65, v8 dst_sel:DWORD dst_unused:UNUSED_PAD src0_sel:WORD_1 src1_sel:DWORD
	v_fma_f16 v6, v65, v8, v6
	v_fma_f16 v4, v65, v4, -v7
	v_pack_b32_f16 v6, v6, v4
	v_add_u32_e32 v4, 0x400, v57
	ds_write2_b32 v4, v5, v6 offset0:44 offset1:194
	s_waitcnt vmcnt(13)
	v_lshrrev_b32_e32 v5, 16, v9
	s_waitcnt vmcnt(12)
	v_mul_f16_sdwa v6, v64, v5 dst_sel:DWORD dst_unused:UNUSED_PAD src0_sel:WORD_1 src1_sel:DWORD
	v_mul_f16_sdwa v7, v64, v9 dst_sel:DWORD dst_unused:UNUSED_PAD src0_sel:WORD_1 src1_sel:DWORD
	v_fma_f16 v6, v64, v9, v6
	v_fma_f16 v5, v64, v5, -v7
	v_pack_b32_f16 v6, v6, v5
	s_waitcnt vmcnt(11)
	v_lshrrev_b32_e32 v5, 16, v10
	s_waitcnt vmcnt(10)
	v_mul_f16_sdwa v7, v63, v5 dst_sel:DWORD dst_unused:UNUSED_PAD src0_sel:WORD_1 src1_sel:DWORD
	v_mul_f16_sdwa v8, v63, v10 dst_sel:DWORD dst_unused:UNUSED_PAD src0_sel:WORD_1 src1_sel:DWORD
	v_fma_f16 v7, v63, v10, v7
	v_fma_f16 v5, v63, v5, -v8
	v_pack_b32_f16 v7, v7, v5
	v_add_u32_e32 v5, 0x800, v57
	ds_write2_b32 v5, v6, v7 offset0:88 offset1:238
	;; [unrolled: 18-line block ×4, first 2 shown]
	s_waitcnt vmcnt(1)
	v_lshrrev_b32_e32 v8, 16, v15
	s_waitcnt vmcnt(0)
	v_mul_f16_sdwa v9, v58, v8 dst_sel:DWORD dst_unused:UNUSED_PAD src0_sel:WORD_1 src1_sel:DWORD
	v_mul_f16_sdwa v10, v58, v15 dst_sel:DWORD dst_unused:UNUSED_PAD src0_sel:WORD_1 src1_sel:DWORD
	v_fma_f16 v9, v58, v15, v9
	v_fma_f16 v8, v58, v8, -v10
	v_pack_b32_f16 v8, v9, v8
	ds_write_b32 v57, v8 offset:6000
	s_and_saveexec_b64 s[18:19], s[0:1]
	s_cbranch_execz .LBB0_3
; %bb.2:
	v_mov_b32_e32 v8, 0xffffea48
	v_mad_u64_u32 v[2:3], s[20:21], s12, v8, v[2:3]
	s_mulk_i32 s13, 0xea48
	s_sub_i32 s12, s13, s12
	v_add_u32_e32 v3, s12, v3
	global_load_dword v8, v[2:3], off
	global_load_dword v9, v[24:25], off offset:440
	v_mov_b32_e32 v10, s7
	v_add_co_u32_e32 v2, vcc, s6, v2
	v_addc_co_u32_e32 v3, vcc, v3, v10, vcc
	global_load_dword v11, v[2:3], off
	global_load_dword v12, v[24:25], off offset:1040
	v_add_co_u32_e32 v2, vcc, s6, v2
	v_addc_co_u32_e32 v3, vcc, v3, v10, vcc
	global_load_dword v13, v[2:3], off
	global_load_dword v14, v[24:25], off offset:1640
	;; [unrolled: 4-line block ×10, first 2 shown]
	v_add_u32_e32 v0, 0x100, v57
	s_waitcnt vmcnt(21)
	v_lshrrev_b32_e32 v1, 16, v8
	s_waitcnt vmcnt(20)
	v_mul_f16_sdwa v2, v9, v8 dst_sel:DWORD dst_unused:UNUSED_PAD src0_sel:WORD_1 src1_sel:DWORD
	v_mul_f16_sdwa v3, v9, v1 dst_sel:DWORD dst_unused:UNUSED_PAD src0_sel:WORD_1 src1_sel:DWORD
	v_fma_f16 v1, v9, v1, -v2
	v_fma_f16 v3, v9, v8, v3
	v_pack_b32_f16 v1, v3, v1
	s_waitcnt vmcnt(19)
	v_lshrrev_b32_e32 v2, 16, v11
	s_waitcnt vmcnt(18)
	v_mul_f16_sdwa v33, v12, v11 dst_sel:DWORD dst_unused:UNUSED_PAD src0_sel:WORD_1 src1_sel:DWORD
	v_mul_f16_sdwa v8, v12, v2 dst_sel:DWORD dst_unused:UNUSED_PAD src0_sel:WORD_1 src1_sel:DWORD
	v_fma_f16 v2, v12, v2, -v33
	v_fma_f16 v3, v12, v11, v8
	s_waitcnt vmcnt(17)
	v_lshrrev_b32_e32 v9, 16, v13
	s_waitcnt vmcnt(16)
	v_mul_f16_sdwa v8, v14, v9 dst_sel:DWORD dst_unused:UNUSED_PAD src0_sel:WORD_1 src1_sel:DWORD
	v_pack_b32_f16 v2, v3, v2
	v_mul_f16_sdwa v33, v14, v13 dst_sel:DWORD dst_unused:UNUSED_PAD src0_sel:WORD_1 src1_sel:DWORD
	v_fma_f16 v3, v14, v13, v8
	s_waitcnt vmcnt(15)
	v_lshrrev_b32_e32 v11, 16, v15
	s_waitcnt vmcnt(14)
	v_mul_f16_sdwa v8, v16, v11 dst_sel:DWORD dst_unused:UNUSED_PAD src0_sel:WORD_1 src1_sel:DWORD
	ds_write2_b32 v0, v1, v2 offset0:46 offset1:196
	v_mul_f16_sdwa v2, v16, v15 dst_sel:DWORD dst_unused:UNUSED_PAD src0_sel:WORD_1 src1_sel:DWORD
	v_fma_f16 v9, v14, v9, -v33
	v_fma_f16 v1, v16, v15, v8
	v_fma_f16 v2, v16, v11, -v2
	v_pack_b32_f16 v0, v3, v9
	v_pack_b32_f16 v1, v1, v2
	v_add_u32_e32 v2, 0x600, v57
	ds_write2_b32 v2, v0, v1 offset0:26 offset1:176
	s_waitcnt vmcnt(13)
	v_lshrrev_b32_e32 v0, 16, v17
	s_waitcnt vmcnt(12)
	v_mul_f16_sdwa v1, v18, v0 dst_sel:DWORD dst_unused:UNUSED_PAD src0_sel:WORD_1 src1_sel:DWORD
	v_mul_f16_sdwa v2, v18, v17 dst_sel:DWORD dst_unused:UNUSED_PAD src0_sel:WORD_1 src1_sel:DWORD
	v_fma_f16 v1, v18, v17, v1
	v_fma_f16 v0, v18, v0, -v2
	v_pack_b32_f16 v0, v1, v0
	s_waitcnt vmcnt(11)
	v_lshrrev_b32_e32 v1, 16, v19
	s_waitcnt vmcnt(10)
	v_mul_f16_sdwa v2, v20, v1 dst_sel:DWORD dst_unused:UNUSED_PAD src0_sel:WORD_1 src1_sel:DWORD
	v_mul_f16_sdwa v3, v20, v19 dst_sel:DWORD dst_unused:UNUSED_PAD src0_sel:WORD_1 src1_sel:DWORD
	v_fma_f16 v2, v20, v19, v2
	v_fma_f16 v1, v20, v1, -v3
	v_pack_b32_f16 v1, v2, v1
	v_add_u32_e32 v2, 0xa00, v57
	ds_write2_b32 v2, v0, v1 offset0:70 offset1:220
	s_waitcnt vmcnt(9)
	v_lshrrev_b32_e32 v0, 16, v21
	s_waitcnt vmcnt(8)
	v_mul_f16_sdwa v1, v22, v0 dst_sel:DWORD dst_unused:UNUSED_PAD src0_sel:WORD_1 src1_sel:DWORD
	v_mul_f16_sdwa v2, v22, v21 dst_sel:DWORD dst_unused:UNUSED_PAD src0_sel:WORD_1 src1_sel:DWORD
	v_fma_f16 v1, v22, v21, v1
	v_fma_f16 v0, v22, v0, -v2
	v_pack_b32_f16 v0, v1, v0
	s_waitcnt vmcnt(7)
	v_lshrrev_b32_e32 v1, 16, v23
	s_waitcnt vmcnt(6)
	v_mul_f16_sdwa v2, v27, v1 dst_sel:DWORD dst_unused:UNUSED_PAD src0_sel:WORD_1 src1_sel:DWORD
	v_mul_f16_sdwa v3, v27, v23 dst_sel:DWORD dst_unused:UNUSED_PAD src0_sel:WORD_1 src1_sel:DWORD
	v_fma_f16 v2, v27, v23, v2
	v_fma_f16 v1, v27, v1, -v3
	;; [unrolled: 18-line block ×3, first 2 shown]
	v_pack_b32_f16 v1, v2, v1
	v_add_u32_e32 v2, 0x1400, v57
	ds_write2_b32 v2, v0, v1 offset0:30 offset1:180
	s_waitcnt vmcnt(1)
	v_lshrrev_b32_e32 v0, 16, v10
	s_waitcnt vmcnt(0)
	v_mul_f16_sdwa v1, v32, v0 dst_sel:DWORD dst_unused:UNUSED_PAD src0_sel:WORD_1 src1_sel:DWORD
	v_mul_f16_sdwa v2, v32, v10 dst_sel:DWORD dst_unused:UNUSED_PAD src0_sel:WORD_1 src1_sel:DWORD
	v_fma_f16 v1, v32, v10, v1
	v_fma_f16 v0, v32, v0, -v2
	v_pack_b32_f16 v0, v1, v0
	ds_write_b32 v57, v0 offset:6440
.LBB0_3:
	s_or_b64 exec, exec, s[18:19]
	s_waitcnt lgkmcnt(0)
	s_barrier
	ds_read2_b32 v[10:11], v57 offset1:150
	ds_read2_b32 v[12:13], v4 offset0:44 offset1:194
	ds_read2_b32 v[18:19], v5 offset0:88 offset1:238
	;; [unrolled: 1-line block ×4, first 2 shown]
	ds_read_b32 v40, v57 offset:6000
	v_mov_b32_e32 v0, 0
                                        ; implicit-def: $vgpr4
                                        ; implicit-def: $vgpr3
                                        ; implicit-def: $vgpr8
                                        ; implicit-def: $vgpr7
                                        ; implicit-def: $vgpr20
	s_and_saveexec_b64 s[6:7], s[0:1]
	s_cbranch_execz .LBB0_5
; %bb.4:
	v_add_u32_e32 v2, 0x600, v57
	v_add_u32_e32 v0, 0x100, v57
	ds_read2_b32 v[6:7], v2 offset0:26 offset1:176
	v_add_u32_e32 v2, 0xa00, v57
	v_add_u32_e32 v4, 0xf00, v57
	;; [unrolled: 1-line block ×3, first 2 shown]
	ds_read2_b32 v[0:1], v0 offset0:46 offset1:196
	ds_read2_b32 v[2:3], v2 offset0:70 offset1:220
	ds_read2_b32 v[4:5], v4 offset0:50 offset1:200
	ds_read2_b32 v[8:9], v8 offset0:30 offset1:180
	ds_read_b32 v20, v57 offset:6440
.LBB0_5:
	s_or_b64 exec, exec, s[6:7]
	s_waitcnt lgkmcnt(0)
	v_pk_add_f16 v30, v1, v20 neg_lo:[0,1] neg_hi:[0,1]
	s_mov_b32 s22, 0xbb47
	v_pk_add_f16 v22, v20, v1
	s_movk_i32 s6, 0x36a6
	v_mul_f16_sdwa v21, v30, s22 dst_sel:DWORD dst_unused:UNUSED_PAD src0_sel:WORD_1 src1_sel:DWORD
	s_mov_b32 s21, 0xbbeb
	s_mov_b32 s19, 0xba0c
	v_pk_add_f16 v39, v6, v9 neg_lo:[0,1] neg_hi:[0,1]
	v_fma_f16 v27, v22, s6, v21
	v_mul_f16_sdwa v41, v30, s21 dst_sel:DWORD dst_unused:UNUSED_PAD src0_sel:WORD_1 src1_sel:DWORD
	s_mov_b32 s7, 0xb08e
	s_mov_b32 s12, 0xb93d
	v_pk_add_f16 v31, v9, v6
	v_mul_f16_sdwa v23, v39, s19 dst_sel:DWORD dst_unused:UNUSED_PAD src0_sel:WORD_1 src1_sel:DWORD
	s_movk_i32 s26, 0x3482
	v_pk_add_f16 v38, v7, v8 neg_lo:[0,1] neg_hi:[0,1]
	v_fma_f16 v28, v22, s7, v41
	s_mov_b32 s13, 0xbbad
	v_fma_f16 v35, v31, s12, v23
	v_mul_f16_sdwa v44, v39, s26 dst_sel:DWORD dst_unused:UNUSED_PAD src0_sel:WORD_1 src1_sel:DWORD
	s_movk_i32 s23, 0x3beb
	v_pk_add_f16 v33, v8, v7
	v_mul_f16_sdwa v29, v38, s26 dst_sel:DWORD dst_unused:UNUSED_PAD src0_sel:WORD_1 src1_sel:DWORD
	s_movk_i32 s20, 0x3b47
	v_pk_add_f16 v37, v2, v5 neg_lo:[0,1] neg_hi:[0,1]
	v_add_f16_e32 v27, v27, v0
	s_mov_b32 s18, 0xb853
	v_fma_f16 v36, v31, s13, v44
	v_fma_f16 v43, v33, s13, v29
	v_mul_f16_sdwa v42, v38, s20 dst_sel:DWORD dst_unused:UNUSED_PAD src0_sel:WORD_1 src1_sel:DWORD
	v_pk_add_f16 v34, v5, v2
	v_mul_f16_sdwa v32, v37, s23 dst_sel:DWORD dst_unused:UNUSED_PAD src0_sel:WORD_1 src1_sel:DWORD
	v_add_f16_e32 v27, v35, v27
	v_add_f16_e32 v28, v28, v0
	s_movk_i32 s16, 0x3abb
	s_movk_i32 s24, 0x3853
	v_fma_f16 v46, v33, s6, v42
	v_fma_f16 v35, v34, s7, v32
	v_add_f16_e32 v28, v36, v28
	v_mul_f16_sdwa v45, v37, s18 dst_sel:DWORD dst_unused:UNUSED_PAD src0_sel:WORD_1 src1_sel:DWORD
	v_add_f16_e32 v27, v43, v27
	v_pk_add_f16 v43, v3, v4 neg_lo:[0,1] neg_hi:[0,1]
	v_fma_f16 v47, v34, s16, v45
	v_add_f16_e32 v28, v46, v28
	v_pk_add_f16 v36, v4, v3
	v_add_f16_e32 v27, v35, v27
	v_mul_f16_sdwa v35, v43, s24 dst_sel:DWORD dst_unused:UNUSED_PAD src0_sel:WORD_1 src1_sel:DWORD
	v_add_f16_e32 v47, v47, v28
	v_fma_f16 v28, v36, s16, v35
	v_mul_f16_sdwa v46, v43, s19 dst_sel:DWORD dst_unused:UNUSED_PAD src0_sel:WORD_1 src1_sel:DWORD
	v_add_f16_e32 v28, v28, v27
	v_fma_f16 v27, v36, s12, v46
	v_add_f16_e32 v27, v27, v47
	v_pk_add_f16 v47, v10, v11
	v_pk_add_f16 v47, v47, v12
	;; [unrolled: 1-line block ×6, first 2 shown]
	v_pk_add_f16 v19, v19, v16 neg_lo:[0,1] neg_hi:[0,1]
	v_pk_add_f16 v16, v48, v16
	v_pk_add_f16 v16, v16, v17
	;; [unrolled: 1-line block ×3, first 2 shown]
	v_pk_add_f16 v13, v13, v14 neg_lo:[0,1] neg_hi:[0,1]
	v_pk_add_f16 v14, v16, v14
	v_pk_add_f16 v77, v15, v12
	v_pk_add_f16 v12, v12, v15 neg_lo:[0,1] neg_hi:[0,1]
	v_pk_add_f16 v14, v14, v15
	v_pk_add_f16 v15, v40, v11
	v_pk_add_f16 v11, v11, v40 neg_lo:[0,1] neg_hi:[0,1]
	v_mul_f16_sdwa v16, v11, s18 dst_sel:DWORD dst_unused:UNUSED_PAD src0_sel:WORD_1 src1_sel:DWORD
	v_pk_add_f16 v47, v17, v18
	v_pk_add_f16 v18, v18, v17 neg_lo:[0,1] neg_hi:[0,1]
	v_fma_f16 v17, v15, s16, -v16
	v_mul_f16_sdwa v81, v12, s22 dst_sel:DWORD dst_unused:UNUSED_PAD src0_sel:WORD_1 src1_sel:DWORD
	v_add_f16_e32 v17, v10, v17
	v_fma_f16 v48, v77, s6, -v81
	s_mov_b32 s27, 0x3abb36a6
	v_add_f16_e32 v17, v48, v17
	s_mov_b32 s28, 0xbb47b853
	v_pk_mul_f16 v48, v15, s27
	s_mov_b32 s27, 0x36a6b93d
	s_mov_b32 s25, 0xffff
	v_pk_fma_f16 v49, v11, s28, v48 op_sel:[0,0,1] op_sel_hi:[1,1,0] neg_lo:[1,0,0] neg_hi:[1,0,0]
	v_pk_fma_f16 v48, v11, s28, v48 op_sel:[0,0,1] op_sel_hi:[1,1,0]
	s_mov_b32 s28, 0xba0cbb47
	v_pk_mul_f16 v51, v77, s27
	v_bfi_b32 v50, s25, v48, v49
	v_pk_fma_f16 v82, v12, s28, v51 op_sel:[0,0,1] op_sel_hi:[1,1,0] neg_lo:[1,0,0] neg_hi:[1,0,0]
	v_pk_fma_f16 v51, v12, s28, v51 op_sel:[0,0,1] op_sel_hi:[1,1,0]
	v_pk_add_f16 v50, v10, v50 op_sel:[1,0] op_sel_hi:[0,1]
	v_bfi_b32 v52, s25, v51, v82
	v_pk_add_f16 v50, v52, v50
	v_lshrrev_b32_e32 v52, 16, v15
	v_mul_f16_e32 v53, 0xbb47, v11
	v_fma_f16 v54, v52, s6, v53
	v_lshrrev_b32_e32 v55, 16, v77
	v_mul_f16_e32 v56, 0xba0c, v12
	v_add_f16_sdwa v54, v10, v54 dst_sel:DWORD dst_unused:UNUSED_PAD src0_sel:WORD_1 src1_sel:DWORD
	v_fma_f16 v70, v55, s12, v56
	v_mul_f16_sdwa v83, v13, s21 dst_sel:DWORD dst_unused:UNUSED_PAD src0_sel:WORD_1 src1_sel:DWORD
	v_add_f16_e32 v54, v70, v54
	v_fma_f16 v70, v78, s7, -v83
	s_mov_b32 s27, 0xb08ebbad
	v_add_f16_e32 v17, v70, v17
	s_mov_b32 s28, 0x3482bbeb
	v_pk_mul_f16 v70, v78, s27
	v_pk_fma_f16 v84, v13, s28, v70 op_sel:[0,0,1] op_sel_hi:[1,1,0] neg_lo:[1,0,0] neg_hi:[1,0,0]
	v_pk_fma_f16 v72, v13, s28, v70 op_sel:[0,0,1] op_sel_hi:[1,1,0]
	v_bfi_b32 v70, s25, v72, v84
	v_lshrrev_b32_e32 v73, 16, v78
	v_mul_f16_e32 v74, 0x3482, v13
	v_pk_add_f16 v50, v70, v50
	v_fma_f16 v70, v73, s13, v74
	v_mul_f16_sdwa v85, v18, s19 dst_sel:DWORD dst_unused:UNUSED_PAD src0_sel:WORD_1 src1_sel:DWORD
	v_add_f16_e32 v54, v70, v54
	v_fma_f16 v70, v47, s12, -v85
	s_mov_b32 s27, 0xb93db08e
	v_add_f16_e32 v17, v70, v17
	s_mov_b32 s28, 0x3bebba0c
	v_pk_mul_f16 v70, v47, s27
	v_pk_fma_f16 v86, v18, s28, v70 op_sel:[0,0,1] op_sel_hi:[1,1,0] neg_lo:[1,0,0] neg_hi:[1,0,0]
	v_pk_fma_f16 v75, v18, s28, v70 op_sel:[0,0,1] op_sel_hi:[1,1,0]
	v_bfi_b32 v70, s25, v75, v86
	v_lshrrev_b32_e32 v76, 16, v47
	v_mul_f16_e32 v79, 0x3beb, v18
	s_mov_b32 s27, 0xb482
	v_pk_add_f16 v50, v70, v50
	v_fma_f16 v70, v76, s7, v79
	v_mul_f16_sdwa v87, v19, s27 dst_sel:DWORD dst_unused:UNUSED_PAD src0_sel:WORD_1 src1_sel:DWORD
	s_mov_b32 s29, 0xbbad3abb
	v_add_f16_e32 v54, v70, v54
	v_fma_f16 v70, v71, s13, -v87
	s_mov_b32 s28, 0x3853b482
	v_pk_mul_f16 v80, v71, s29
	v_add_f16_e32 v17, v70, v17
	v_pk_fma_f16 v88, v19, s28, v80 op_sel:[0,0,1] op_sel_hi:[1,1,0] neg_lo:[1,0,0] neg_hi:[1,0,0]
	v_pk_fma_f16 v70, v19, s28, v80 op_sel:[0,0,1] op_sel_hi:[1,1,0]
	v_bfi_b32 v70, s25, v70, v88
	v_lshrrev_b32_e32 v89, 16, v71
	v_mul_f16_e32 v90, 0x3853, v19
	v_pk_add_f16 v50, v70, v50
	v_fma_f16 v70, v89, s16, v90
	v_add_f16_e32 v54, v70, v54
	v_alignbit_b32 v54, v54, v50, 16
	v_pack_b32_f16 v17, v17, v50
	v_mul_lo_u16_e32 v50, 11, v68
	v_lshlrev_b32_e32 v70, 2, v50
	s_barrier
	ds_write2_b32 v70, v17, v54 offset0:1 offset1:2
	v_mul_f16_sdwa v17, v11, s21 dst_sel:DWORD dst_unused:UNUSED_PAD src0_sel:WORD_1 src1_sel:DWORD
	v_fma_f16 v50, v15, s7, -v17
	v_mul_f16_sdwa v54, v12, s26 dst_sel:DWORD dst_unused:UNUSED_PAD src0_sel:WORD_1 src1_sel:DWORD
	v_add_f16_e32 v50, v10, v50
	v_fma_f16 v91, v77, s13, -v54
	v_add_f16_e32 v50, v91, v50
	v_mul_f16_e32 v91, 0xbbeb, v11
	v_fma_f16 v92, v52, s7, v91
	v_mul_f16_e32 v93, 0x3482, v12
	v_add_f16_sdwa v92, v10, v92 dst_sel:DWORD dst_unused:UNUSED_PAD src0_sel:WORD_1 src1_sel:DWORD
	v_fma_f16 v94, v55, s13, v93
	v_add_f16_e32 v92, v94, v92
	v_mul_f16_sdwa v94, v11, s19 dst_sel:DWORD dst_unused:UNUSED_PAD src0_sel:WORD_1 src1_sel:DWORD
	v_fma_f16 v95, v15, s12, -v94
	v_mul_f16_sdwa v96, v12, s23 dst_sel:DWORD dst_unused:UNUSED_PAD src0_sel:WORD_1 src1_sel:DWORD
	v_add_f16_e32 v95, v10, v95
	v_fma_f16 v97, v77, s7, -v96
	v_add_f16_e32 v95, v97, v95
	v_mul_f16_e32 v97, 0xba0c, v11
	v_fma_f16 v98, v52, s12, v97
	v_mul_f16_e32 v99, 0x3beb, v12
	v_add_f16_sdwa v98, v10, v98 dst_sel:DWORD dst_unused:UNUSED_PAD src0_sel:WORD_1 src1_sel:DWORD
	v_fma_f16 v100, v55, s7, v99
	v_add_f16_e32 v98, v100, v98
	v_mul_f16_sdwa v100, v13, s20 dst_sel:DWORD dst_unused:UNUSED_PAD src0_sel:WORD_1 src1_sel:DWORD
	v_fma_f16 v101, v78, s6, -v100
	v_add_f16_e32 v50, v101, v50
	v_mul_f16_e32 v101, 0x3b47, v13
	v_fma_f16 v102, v73, s6, v101
	v_add_f16_e32 v92, v102, v92
	v_mul_f16_sdwa v102, v13, s18 dst_sel:DWORD dst_unused:UNUSED_PAD src0_sel:WORD_1 src1_sel:DWORD
	v_fma_f16 v103, v78, s16, -v102
	v_add_f16_e32 v95, v103, v95
	v_mul_f16_e32 v103, 0xb853, v13
	;; [unrolled: 6-line block ×6, first 2 shown]
	v_fma_f16 v112, v89, s6, v111
	v_add_f16_e32 v98, v112, v98
	v_pack_b32_f16 v95, v95, v98
	v_pack_b32_f16 v50, v50, v92
	ds_write2_b32 v70, v50, v95 offset0:3 offset1:4
	v_fma_f16 v50, v52, s6, -v53
	v_fma_f16 v53, v52, s7, -v91
	v_fma_f16 v16, v15, s16, v16
	v_fma_f16 v17, v15, s7, v17
	;; [unrolled: 1-line block ×3, first 2 shown]
	v_pk_mul_f16 v15, v15, s13 op_sel_hi:[1,0]
	v_pk_fma_f16 v92, v11, s27, v15 op_sel:[0,0,1] op_sel_hi:[1,0,0] neg_lo:[1,0,0] neg_hi:[1,0,0]
	v_fma_f16 v52, v52, s12, -v97
	v_pk_fma_f16 v11, v11, s27, v15 op_sel:[0,0,1] op_sel_hi:[1,0,0]
	v_alignbit_b32 v15, s0, v48, 16
	v_add_f16_sdwa v48, v10, v50 dst_sel:DWORD dst_unused:UNUSED_PAD src0_sel:WORD_1 src1_sel:DWORD
	v_add_f16_sdwa v50, v10, v53 dst_sel:DWORD dst_unused:UNUSED_PAD src0_sel:WORD_1 src1_sel:DWORD
	v_add_f16_e32 v53, v10, v91
	v_add_f16_sdwa v91, v10, v49 dst_sel:DWORD dst_unused:UNUSED_PAD src0_sel:WORD_1 src1_sel:DWORD
	v_alignbit_b32 v49, s0, v92, 16
	v_add_f16_e32 v16, v10, v16
	v_pk_add_f16 v15, v10, v15
	v_add_f16_e32 v17, v10, v17
	v_add_f16_sdwa v52, v10, v52 dst_sel:DWORD dst_unused:UNUSED_PAD src0_sel:WORD_1 src1_sel:DWORD
	v_pk_add_f16 v49, v10, v49
	v_pk_add_f16 v11, v10, v11 op_sel:[1,0] op_sel_hi:[0,1]
	v_alignbit_b32 v10, s0, v10, 16
	v_pk_add_f16 v10, v10, v92
	v_pk_mul_f16 v92, v77, s16 op_sel_hi:[1,0]
	v_pk_fma_f16 v94, v12, s24, v92 op_sel:[0,0,1] op_sel_hi:[1,0,0] neg_lo:[1,0,0] neg_hi:[1,0,0]
	v_pk_fma_f16 v12, v12, s24, v92 op_sel:[0,0,1] op_sel_hi:[1,0,0]
	v_pk_add_f16 v11, v12, v11
	v_pk_mul_f16 v12, v78, s12 op_sel_hi:[1,0]
	v_pk_fma_f16 v92, v13, s19, v12 op_sel:[0,0,1] op_sel_hi:[1,0,0] neg_lo:[1,0,0] neg_hi:[1,0,0]
	v_pk_fma_f16 v12, v13, s19, v12 op_sel:[0,0,1] op_sel_hi:[1,0,0]
	v_pk_add_f16 v11, v12, v11
	v_pk_mul_f16 v12, v47, s6 op_sel_hi:[1,0]
	v_alignbit_b32 v95, s0, v94, 16
	v_pk_add_f16 v10, v94, v10
	v_pk_fma_f16 v13, v18, s20, v12 op_sel:[0,0,1] op_sel_hi:[1,0,0] neg_lo:[1,0,0] neg_hi:[1,0,0]
	v_pk_fma_f16 v12, v18, s20, v12 op_sel:[0,0,1] op_sel_hi:[1,0,0]
	v_pk_add_f16 v49, v95, v49
	v_alignbit_b32 v94, s0, v92, 16
	v_pk_add_f16 v10, v92, v10
	v_pk_add_f16 v11, v12, v11
	v_pk_mul_f16 v12, v71, s7 op_sel_hi:[1,0]
	v_pk_add_f16 v49, v94, v49
	v_alignbit_b32 v92, s0, v13, 16
	v_pk_add_f16 v10, v13, v10
	v_pk_fma_f16 v13, v19, s21, v12 op_sel:[0,0,1] op_sel_hi:[1,0,0] neg_lo:[1,0,0] neg_hi:[1,0,0]
	v_pk_add_f16 v49, v92, v49
	v_alignbit_b32 v18, s0, v13, 16
	v_pk_fma_f16 v12, v19, s21, v12 op_sel:[0,0,1] op_sel_hi:[1,0,0]
	v_pk_add_f16 v18, v18, v49
	v_pk_add_f16 v11, v12, v11
	;; [unrolled: 1-line block ×3, first 2 shown]
	v_alignbit_b32 v10, v10, v11, 16
	v_pack_b32_f16 v11, v18, v11
	ds_write2_b32 v70, v11, v10 offset0:5 offset1:6
	v_fma_f16 v11, v77, s7, v96
	v_add_f16_e32 v11, v11, v53
	v_fma_f16 v12, v55, s7, -v99
	v_fma_f16 v13, v78, s16, v102
	v_add_f16_e32 v12, v12, v52
	v_add_f16_e32 v11, v13, v11
	v_fma_f16 v13, v73, s16, -v103
	v_add_f16_e32 v12, v13, v12
	v_fma_f16 v13, v47, s13, v106
	v_add_f16_e32 v11, v13, v11
	v_fma_f16 v13, v76, s13, -v107
	v_add_f16_e32 v12, v13, v12
	v_fma_f16 v13, v71, s6, v110
	v_add_f16_e32 v11, v13, v11
	v_fma_f16 v13, v89, s6, -v111
	v_add_f16_e32 v12, v13, v12
	v_pk_add_f16 v10, v14, v40
	v_pack_b32_f16 v11, v11, v12
	ds_write2_b32 v70, v10, v11 offset1:7
	v_alignbit_b32 v10, s0, v51, 16
	v_pk_add_f16 v10, v10, v15
	v_fma_f16 v11, v55, s12, -v56
	v_alignbit_b32 v14, s0, v72, 16
	v_add_f16_e32 v11, v11, v48
	v_fma_f16 v12, v77, s13, v54
	v_pk_add_f16 v10, v14, v10
	v_fma_f16 v14, v73, s13, -v74
	v_add_f16_e32 v12, v12, v17
	v_fma_f16 v13, v55, s13, -v93
	v_add_f16_e32 v11, v14, v11
	v_fma_f16 v14, v78, s6, v100
	v_add_f16_e32 v13, v13, v50
	v_add_f16_e32 v12, v14, v12
	v_fma_f16 v14, v73, s6, -v101
	v_add_f16_e32 v13, v14, v13
	v_fma_f16 v14, v76, s7, -v79
	v_add_f16_e32 v11, v14, v11
	v_fma_f16 v14, v47, s16, v104
	v_fma_f16 v15, v89, s16, -v90
	v_add_f16_e32 v12, v14, v12
	v_add_f16_e32 v11, v15, v11
	v_fma_f16 v15, v71, s12, v108
	v_fma_f16 v14, v76, s16, -v105
	v_add_f16_e32 v12, v15, v12
	v_pk_mul_f16 v15, v19, s28
	v_pack_b32_f16 v14, v14, v80
	v_bfi_b32 v13, s25, v13, v15
	v_pk_add_f16 v13, v14, v13
	v_mul_f16_e32 v14, 0xba0c, v19
	v_lshlrev_b32_e32 v10, 16, v10
	v_pk_add_f16 v14, v109, v14 neg_lo:[0,1] neg_hi:[0,1]
	v_pk_add_f16 v10, v75, v10
	v_bfi_b32 v10, s25, v14, v10
	v_pk_add_f16 v10, v10, v13
	v_alignbit_b32 v11, v11, v10, 16
	v_pack_b32_f16 v10, v12, v10
	ds_write2_b32 v70, v10, v11 offset0:8 offset1:9
	v_mul_f16_sdwa v11, v30, s18 dst_sel:DWORD dst_unused:UNUSED_PAD src0_sel:WORD_1 src1_sel:DWORD
	v_fma_f16 v10, v22, s16, v11
	v_add_f16_e32 v12, v10, v0
	v_mul_f16_sdwa v10, v39, s22 dst_sel:DWORD dst_unused:UNUSED_PAD src0_sel:WORD_1 src1_sel:DWORD
	v_fma_f16 v13, v31, s6, v10
	v_add_f16_e32 v14, v13, v12
	v_lshrrev_b32_e32 v19, 16, v22
	v_mul_f16_e32 v12, 0xbb47, v30
	v_fma_f16 v13, v19, s6, -v12
	v_add_f16_sdwa v15, v13, v0 dst_sel:DWORD dst_unused:UNUSED_PAD src0_sel:DWORD src1_sel:WORD_1
	v_lshrrev_b32_e32 v40, 16, v31
	v_mul_f16_e32 v13, 0xba0c, v39
	v_fma_f16 v17, v40, s12, -v13
	v_add_f16_e32 v15, v17, v15
	v_fma_f16 v17, v22, s7, -v41
	v_fma_f16 v18, v31, s13, -v44
	v_add_f16_e32 v17, v17, v0
	v_add_f16_e32 v17, v18, v17
	v_mul_f16_e32 v18, 0xbbeb, v30
	v_fma_f16 v41, v19, s7, v18
	v_mul_f16_e32 v44, 0x3482, v39
	v_add_f16_sdwa v41, v41, v0 dst_sel:DWORD dst_unused:UNUSED_PAD src0_sel:DWORD src1_sel:WORD_1
	v_fma_f16 v48, v40, s13, v44
	v_fma_f16 v18, v19, s7, -v18
	v_add_f16_e32 v50, v48, v41
	v_fma_f16 v41, v40, s13, -v44
	v_add_f16_sdwa v18, v18, v0 dst_sel:DWORD dst_unused:UNUSED_PAD src0_sel:DWORD src1_sel:WORD_1
	v_add_f16_e32 v18, v41, v18
	v_mul_f16_sdwa v41, v30, s19 dst_sel:DWORD dst_unused:UNUSED_PAD src0_sel:WORD_1 src1_sel:DWORD
	v_fma_f16 v44, v22, s12, -v41
	v_mul_f16_sdwa v48, v39, s23 dst_sel:DWORD dst_unused:UNUSED_PAD src0_sel:WORD_1 src1_sel:DWORD
	v_add_f16_e32 v44, v44, v0
	v_fma_f16 v49, v31, s7, -v48
	v_fma_f16 v41, v22, s12, v41
	v_add_f16_e32 v51, v49, v44
	v_mul_f16_e32 v44, 0xba0c, v30
	v_fma_f16 v48, v31, s7, v48
	v_add_f16_e32 v41, v41, v0
	v_mul_f16_e32 v52, 0x3beb, v39
	v_add_f16_e32 v54, v48, v41
	v_fma_f16 v41, v19, s12, -v44
	v_fma_f16 v49, v19, s12, v44
	v_fma_f16 v44, v40, s7, -v52
	v_add_f16_sdwa v41, v41, v0 dst_sel:DWORD dst_unused:UNUSED_PAD src0_sel:DWORD src1_sel:WORD_1
	s_mov_b32 s23, 0xb482b853
	v_fma_f16 v53, v40, s7, v52
	v_add_f16_e32 v52, v44, v41
	s_mov_b32 s22, 0x3abbbbad
	v_pk_mul_f16 v41, v30, s23
	v_pk_fma_f16 v44, v22, s22, v41 op_sel:[0,0,1] op_sel_hi:[1,1,0] neg_lo:[0,0,1] neg_hi:[0,0,1]
	s_mov_b32 s24, 0x3853bb47
	v_add_f16_sdwa v49, v49, v0 dst_sel:DWORD dst_unused:UNUSED_PAD src0_sel:DWORD src1_sel:WORD_1
	v_pk_add_f16 v48, v44, v0
	s_mov_b32 s23, 0x36a63abb
	v_pk_mul_f16 v44, v39, s24
	v_mul_f16_e32 v30, 0xb482, v30
	v_add_f16_e32 v53, v53, v49
	v_pk_fma_f16 v49, v31, s23, v44 op_sel:[0,0,1] op_sel_hi:[1,1,0] neg_lo:[0,0,1] neg_hi:[0,0,1]
	v_mul_f16_e32 v56, 0x3853, v39
	v_fma_f16 v39, v19, s13, -v30
	v_pk_add_f16 v55, v49, v48
	v_add_f16_sdwa v39, v39, v0 dst_sel:DWORD dst_unused:UNUSED_PAD src0_sel:DWORD src1_sel:WORD_1
	v_fma_f16 v48, v40, s16, -v56
	v_add_f16_e32 v72, v48, v39
	v_mul_f16_sdwa v39, v38, s21 dst_sel:DWORD dst_unused:UNUSED_PAD src0_sel:WORD_1 src1_sel:DWORD
	v_fma_f16 v48, v33, s7, v39
	v_add_f16_e32 v14, v48, v14
	v_lshrrev_b32_e32 v49, 16, v33
	v_mul_f16_e32 v48, 0x3482, v38
	v_fma_f16 v42, v33, s6, -v42
	v_fma_f16 v73, v49, s13, -v48
	v_add_f16_e32 v17, v42, v17
	v_mul_f16_e32 v42, 0x3b47, v38
	v_add_f16_e32 v15, v73, v15
	v_fma_f16 v73, v49, s6, v42
	v_fma_f16 v42, v49, s6, -v42
	v_add_f16_e32 v18, v42, v18
	v_mul_f16_sdwa v42, v38, s18 dst_sel:DWORD dst_unused:UNUSED_PAD src0_sel:WORD_1 src1_sel:DWORD
	v_add_f16_e32 v73, v73, v50
	v_fma_f16 v50, v33, s16, -v42
	v_add_f16_e32 v74, v50, v51
	v_mul_f16_e32 v50, 0xb853, v38
	v_fma_f16 v51, v49, s16, v50
	v_fma_f16 v42, v33, s16, v42
	v_fma_f16 v50, v49, s16, -v50
	s_mov_b32 s21, 0xba0cbbeb
	v_mul_f16_e32 v79, 0xba0c, v38
	v_add_f16_e32 v42, v42, v54
	v_add_f16_e32 v54, v50, v52
	s_mov_b32 s18, 0xb08eb93d
	v_pk_mul_f16 v50, v38, s21
	v_fma_f16 v38, v49, s12, -v79
	v_add_f16_e32 v53, v51, v53
	v_pk_fma_f16 v51, v33, s18, v50 op_sel:[0,0,1] op_sel_hi:[1,1,0] neg_lo:[0,0,1] neg_hi:[0,0,1]
	v_add_f16_e32 v72, v38, v72
	v_mul_f16_sdwa v38, v37, s19 dst_sel:DWORD dst_unused:UNUSED_PAD src0_sel:WORD_1 src1_sel:DWORD
	v_pk_add_f16 v55, v51, v55
	v_fma_f16 v51, v34, s12, v38
	v_add_f16_e32 v14, v51, v14
	v_lshrrev_b32_e32 v52, 16, v34
	v_mul_f16_e32 v51, 0x3beb, v37
	v_fma_f16 v45, v34, s16, -v45
	v_fma_f16 v75, v52, s7, -v51
	v_add_f16_e32 v17, v45, v17
	v_mul_f16_e32 v45, 0xb853, v37
	v_add_f16_e32 v15, v75, v15
	v_fma_f16 v75, v52, s16, v45
	v_fma_f16 v45, v52, s16, -v45
	v_add_f16_e32 v18, v45, v18
	v_mul_f16_sdwa v45, v37, s27 dst_sel:DWORD dst_unused:UNUSED_PAD src0_sel:WORD_1 src1_sel:DWORD
	v_add_f16_e32 v75, v75, v73
	v_fma_f16 v73, v34, s13, -v45
	v_add_f16_e32 v76, v73, v74
	v_mul_f16_e32 v73, 0xb482, v37
	v_fma_f16 v74, v52, s13, v73
	s_mov_b32 s21, 0x3b47ba0c
	v_mul_f16_e32 v90, 0x3b47, v37
	v_add_f16_e32 v80, v74, v53
	v_fma_f16 v45, v34, s13, v45
	s_mov_b32 s19, 0xb93d36a6
	v_pk_mul_f16 v53, v37, s21
	v_fma_f16 v37, v52, s6, -v90
	v_add_f16_e32 v89, v45, v42
	v_fma_f16 v42, v52, s13, -v73
	v_pk_fma_f16 v45, v34, s19, v53 op_sel:[0,0,1] op_sel_hi:[1,1,0] neg_lo:[0,0,1] neg_hi:[0,0,1]
	v_add_f16_e32 v92, v37, v72
	v_mul_f16_sdwa v37, v43, s27 dst_sel:DWORD dst_unused:UNUSED_PAD src0_sel:WORD_1 src1_sel:DWORD
	v_add_f16_e32 v42, v42, v54
	v_pk_add_f16 v54, v45, v55
	v_fma_f16 v45, v36, s13, v37
	v_add_f16_e32 v73, v45, v14
	v_lshrrev_b32_e32 v55, 16, v36
	v_mul_f16_e32 v45, 0x3853, v43
	v_fma_f16 v14, v55, s16, -v45
	v_add_f16_e32 v72, v14, v15
	v_fma_f16 v14, v36, s12, -v46
	v_add_f16_e32 v14, v14, v17
	v_mul_f16_e32 v17, 0xba0c, v43
	v_fma_f16 v15, v55, s12, v17
	v_fma_f16 v17, v55, s12, -v17
	v_mul_f16_sdwa v93, v43, s20 dst_sel:DWORD dst_unused:UNUSED_PAD src0_sel:WORD_1 src1_sel:DWORD
	v_mul_f16_e32 v46, 0x3b47, v43
	s_mov_b32 s16, 0xbbebb482
	v_add_f16_e32 v15, v15, v75
	v_add_f16_e32 v74, v17, v18
	v_fma_f16 v17, v36, s6, -v93
	v_fma_f16 v18, v55, s6, v46
	v_fma_f16 v46, v55, s6, -v46
	s_mov_b32 s20, 0xbbadb08e
	v_pk_mul_f16 v75, v43, s16
	v_add_f16_e32 v17, v17, v76
	v_add_f16_e32 v76, v46, v42
	v_pk_fma_f16 v42, v36, s20, v75 op_sel:[0,0,1] op_sel_hi:[1,1,0] neg_lo:[0,0,1] neg_hi:[0,0,1]
	v_pk_add_f16 v42, v42, v54
	v_pk_fma_f16 v46, v22, s22, v41 op_sel:[0,0,1] op_sel_hi:[1,1,0]
	s_mov_b32 s16, 0x5040100
	v_mul_f16_e32 v54, 0x3abb, v40
	v_pack_b32_f16 v46, v56, v46
	v_perm_b32 v54, v0, v54, s16
	v_pk_add_f16 v54, v46, v54
	v_fma_f16 v30, v19, s13, v30
	v_pk_mul_f16 v46, v31, s23
	s_mov_b32 s21, 0x7060302
	v_pack_b32_f16 v30, v30, v46
	v_perm_b32 v56, v44, v0, s21
	v_pk_add_f16 v30, v30, v56
	v_pk_add_f16 v30, v30, v54
	v_pk_mul_f16 v54, v33, s18
	v_pack_b32_f16 v56, v79, v54
	v_mul_f16_e32 v79, 0xb93d, v49
	v_bfi_b32 v79, s25, v79, v50
	v_pk_add_f16 v56, v56, v79
	v_add_f16_e32 v18, v18, v80
	v_pk_add_f16 v30, v56, v30
	v_pk_mul_f16 v56, v34, s19
	v_mul_f16_e32 v80, 0x36a6, v52
	v_pack_b32_f16 v79, v90, v56
	v_bfi_b32 v80, s25, v80, v53
	v_pk_add_f16 v79, v79, v80
	v_mul_f16_e32 v80, 0xbbeb, v43
	v_mul_f16_e32 v43, 0xb08e, v55
	v_pk_add_f16 v30, v79, v30
	v_bfi_b32 v79, s25, v43, v75
	v_pk_mul_f16 v43, v36, s20
	v_pack_b32_f16 v90, v80, v43
	v_pk_add_f16 v79, v90, v79
	v_pk_add_f16 v79, v79, v30
	v_fma_f16 v30, v55, s7, -v80
	v_add_f16_e32 v80, v30, v92
	v_fma_f16 v30, v77, s6, v81
	v_add_f16_e32 v16, v30, v16
	v_fma_f16 v30, v78, s7, v83
	;; [unrolled: 2-line block ×4, first 2 shown]
	v_add_f16_e32 v16, v30, v16
	v_add_f16_e32 v30, v82, v91
	v_add_f16_e32 v30, v84, v30
	v_add_f16_e32 v30, v86, v30
	v_add_f16_e32 v30, v88, v30
	s_load_dwordx2 s[12:13], s[4:5], 0x8
	v_pack_b32_f16 v16, v16, v30
	ds_write_b32 v70, v16 offset:40
	v_fma_f16 v16, v36, s6, v93
	v_add_f16_e32 v30, v16, v89
	v_add_co_u32_e32 v16, vcc, 0x6e, v68
	v_mul_u32_u24_e32 v71, 11, v16
	s_and_saveexec_b64 s[4:5], s[0:1]
	s_cbranch_execz .LBB0_7
; %bb.6:
	v_mul_f16_e32 v19, 0x36a6, v19
	v_mul_f16_e32 v40, 0xb93d, v40
	v_add_f16_e32 v12, v12, v19
	v_mul_f16_e32 v49, 0xbbad, v49
	v_add_f16_sdwa v12, v12, v0 dst_sel:DWORD dst_unused:UNUSED_PAD src0_sel:DWORD src1_sel:WORD_1
	v_add_f16_e32 v13, v13, v40
	v_mul_f16_e32 v52, 0xb08e, v52
	v_add_f16_e32 v12, v13, v12
	v_add_f16_e32 v13, v48, v49
	v_mul_f16_e32 v55, 0x3abb, v55
	v_add_f16_e32 v12, v13, v12
	v_add_f16_e32 v13, v51, v52
	v_mul_f16_e32 v77, 0x36a6, v22
	v_add_f16_e32 v12, v13, v12
	v_add_f16_e32 v13, v45, v55
	v_mul_f16_e32 v78, 0x36a6, v31
	v_mul_f16_e32 v31, 0xb93d, v31
	v_add_f16_e32 v12, v13, v12
	v_sub_f16_e32 v13, v77, v21
	v_mul_f16_e32 v81, 0xb08e, v33
	v_mul_f16_e32 v33, 0xbbad, v33
	v_add_f16_e32 v13, v13, v0
	v_sub_f16_e32 v19, v31, v23
	;; [unrolled: 4-line block ×3, first 2 shown]
	v_mul_f16_e32 v47, 0x3abb, v22
	v_mul_f16_e32 v83, 0xbbad, v36
	;; [unrolled: 1-line block ×3, first 2 shown]
	v_pk_mul_f16 v22, v22, s22
	v_add_f16_e32 v13, v19, v13
	v_sub_f16_e32 v19, v34, v32
	v_alignbit_b32 v41, v41, v41, 16
	v_add_f16_e32 v13, v19, v13
	v_sub_f16_e32 v19, v36, v35
	v_bfi_b32 v11, s25, v11, v22
	v_pk_add_f16 v1, v1, v0
	v_alignbit_b32 v44, v44, v44, 16
	v_add_f16_e32 v13, v19, v13
	v_pk_add_f16 v11, v47, v11 neg_lo:[0,1] neg_hi:[0,1]
	v_pk_add_f16 v19, v41, v22
	v_bfi_b32 v10, s25, v10, v46
	v_pk_add_f16 v1, v6, v1
	v_bfi_b32 v11, s25, v11, v19
	v_pk_add_f16 v10, v78, v10 neg_lo:[0,1] neg_hi:[0,1]
	v_pk_add_f16 v19, v44, v46
	v_pk_add_f16 v1, v7, v1
	v_alignbit_b32 v50, v50, v50, 16
	v_bfi_b32 v10, s25, v10, v19
	v_bfi_b32 v19, s25, v39, v54
	v_pk_add_f16 v1, v2, v1
	v_pk_add_f16 v19, v81, v19 neg_lo:[0,1] neg_hi:[0,1]
	v_pk_add_f16 v21, v50, v54
	v_pk_add_f16 v1, v3, v1
	v_alignbit_b32 v53, v53, v53, 16
	v_bfi_b32 v19, s25, v19, v21
	v_bfi_b32 v21, s25, v38, v56
	v_pk_add_f16 v1, v4, v1
	v_pk_add_f16 v0, v11, v0
	v_alignbit_b32 v75, v75, v75, 16
	v_pk_add_f16 v21, v82, v21 neg_lo:[0,1] neg_hi:[0,1]
	v_pk_add_f16 v22, v53, v56
	v_pk_add_f16 v1, v5, v1
	;; [unrolled: 1-line block ×3, first 2 shown]
	v_bfi_b32 v2, s25, v37, v43
	v_bfi_b32 v21, s25, v21, v22
	v_pk_add_f16 v1, v8, v1
	v_pk_add_f16 v0, v19, v0
	v_pk_add_f16 v2, v83, v2 neg_lo:[0,1] neg_hi:[0,1]
	v_pk_add_f16 v3, v75, v43
	v_pk_add_f16 v1, v9, v1
	;; [unrolled: 1-line block ×3, first 2 shown]
	v_bfi_b32 v2, s25, v2, v3
	v_lshlrev_b32_e32 v22, 2, v71
	v_pk_add_f16 v1, v20, v1
	v_pk_add_f16 v0, v2, v0
	ds_write2_b32 v22, v1, v0 offset1:1
	v_pack_b32_f16 v0, v13, v12
	v_perm_b32 v1, v15, v14, s16
	ds_write2_b32 v22, v0, v1 offset0:2 offset1:3
	v_perm_b32 v0, v18, v17, s16
	ds_write_b32 v22, v0 offset:16
	v_perm_b32 v0, v79, v42, s16
	v_alignbit_b32 v1, v80, v79, 16
	ds_write2_b32 v22, v0, v1 offset0:5 offset1:6
	v_perm_b32 v0, v74, v27, s16
	v_perm_b32 v1, v76, v30, s16
	ds_write2_b32 v22, v1, v0 offset0:7 offset1:8
	v_bfi_b32 v0, s25, v73, v42
	v_perm_b32 v1, v72, v28, s16
	ds_write2_b32 v22, v1, v0 offset0:9 offset1:10
.LBB0_7:
	s_or_b64 exec, exec, s[4:5]
	v_add_u32_e32 v2, 0xe00, v57
	s_waitcnt lgkmcnt(0)
	s_barrier
	ds_read2_b32 v[12:13], v2 offset0:39 offset1:149
	v_add_u32_e32 v2, 0x200, v57
	ds_read2_b32 v[6:7], v2 offset0:92 offset1:202
	v_add_u32_e32 v2, 0x1000, v57
	v_add_u32_e32 v0, 0xa00, v57
	ds_read2_b32 v[10:11], v2 offset0:131 offset1:241
	v_add_u32_e32 v2, 0x600, v57
	v_add_u32_e32 v8, 0x1400, v57
	ds_read2_b32 v[4:5], v57 offset1:110
	ds_read2_b32 v[0:1], v0 offset0:20 offset1:185
	ds_read2_b32 v[2:3], v2 offset0:56 offset1:166
	;; [unrolled: 1-line block ×3, first 2 shown]
	v_cmp_gt_u16_e64 s[4:5], 55, v68
	s_and_saveexec_b64 s[6:7], s[4:5]
	s_cbranch_execz .LBB0_9
; %bb.8:
	ds_read_b32 v14, v57 offset:3080
	ds_read_b32 v17, v57 offset:6380
	s_waitcnt lgkmcnt(1)
	v_lshrrev_b32_e32 v15, 16, v14
	s_waitcnt lgkmcnt(0)
	v_lshrrev_b32_e32 v18, 16, v17
.LBB0_9:
	s_or_b64 exec, exec, s[6:7]
	v_add_co_u32_e32 v20, vcc, 0xdc, v68
	s_movk_i32 s16, 0x1b8
	s_mov_b64 s[6:7], vcc
	v_add_co_u32_e32 v19, vcc, s16, v68
	s_movk_i32 s16, 0x226
	v_add_co_u32_e32 v21, vcc, s16, v68
	s_movk_i32 s16, 0x294
	;; [unrolled: 2-line block ×3, first 2 shown]
	v_mul_lo_u16_sdwa v22, v68, s16 dst_sel:DWORD dst_unused:UNUSED_PAD src0_sel:BYTE_0 src1_sel:DWORD
	v_sub_u16_sdwa v29, v68, v22 dst_sel:DWORD dst_unused:UNUSED_PAD src0_sel:DWORD src1_sel:BYTE_1
	v_lshrrev_b16_e32 v29, 1, v29
	v_and_b32_e32 v29, 0x7f, v29
	v_add_u16_sdwa v22, v29, v22 dst_sel:DWORD dst_unused:UNUSED_PAD src0_sel:DWORD src1_sel:BYTE_1
	v_lshrrev_b16_e32 v32, 3, v22
	v_mul_lo_u16_e32 v22, 11, v32
	v_sub_u16_e32 v22, v68, v22
	v_and_b32_e32 v33, 0xff, v22
	v_mul_lo_u16_sdwa v22, v16, s16 dst_sel:DWORD dst_unused:UNUSED_PAD src0_sel:BYTE_0 src1_sel:DWORD
	v_sub_u16_sdwa v34, v16, v22 dst_sel:DWORD dst_unused:UNUSED_PAD src0_sel:DWORD src1_sel:BYTE_1
	v_lshrrev_b16_e32 v34, 1, v34
	v_and_b32_e32 v34, 0x7f, v34
	v_add_u16_sdwa v22, v34, v22 dst_sel:DWORD dst_unused:UNUSED_PAD src0_sel:DWORD src1_sel:BYTE_1
	v_lshrrev_b16_e32 v34, 3, v22
	v_mul_lo_u16_e32 v22, 11, v34
	v_sub_u16_e32 v22, v16, v22
	s_mov_b32 s16, 0xba2f
	v_and_b32_e32 v35, 0xff, v22
	v_mul_u32_u24_sdwa v22, v20, s16 dst_sel:DWORD dst_unused:UNUSED_PAD src0_sel:WORD_0 src1_sel:DWORD
	v_lshrrev_b32_e32 v38, 19, v22
	v_add_co_u32_e32 v23, vcc, 0x14a, v68
	v_mul_lo_u16_e32 v37, 11, v38
	v_sub_u16_e32 v39, v20, v37
	v_mul_u32_u24_sdwa v37, v23, s16 dst_sel:DWORD dst_unused:UNUSED_PAD src0_sel:WORD_0 src1_sel:DWORD
	v_lshrrev_b32_e32 v43, 19, v37
	v_mul_lo_u16_e32 v41, 11, v43
	v_sub_u16_e32 v44, v23, v41
	v_lshlrev_b32_e32 v29, 2, v33
	v_lshlrev_b32_e32 v36, 2, v35
	;; [unrolled: 1-line block ×4, first 2 shown]
	v_mul_u32_u24_sdwa v47, v21, s16 dst_sel:DWORD dst_unused:UNUSED_PAD src0_sel:WORD_0 src1_sel:DWORD
	global_load_dword v81, v29, s[12:13]
	global_load_dword v82, v36, s[12:13]
	;; [unrolled: 1-line block ×4, first 2 shown]
	v_lshrrev_b32_e32 v40, 19, v47
	v_mul_lo_u16_e32 v47, 11, v40
	v_sub_u16_e32 v47, v21, v47
	v_lshlrev_b32_e32 v21, 2, v47
	global_load_dword v86, v21, s[12:13]
	v_mul_u32_u24_sdwa v29, v19, s16 dst_sel:DWORD dst_unused:UNUSED_PAD src0_sel:WORD_0 src1_sel:DWORD
	v_lshrrev_b32_e32 v45, 19, v29
	v_mul_u32_u24_sdwa v41, v31, s16 dst_sel:DWORD dst_unused:UNUSED_PAD src0_sel:WORD_0 src1_sel:DWORD
	v_mul_lo_u16_e32 v46, 11, v45
	v_lshrrev_b32_e32 v48, 19, v41
	v_sub_u16_e32 v36, v19, v46
	v_mul_lo_u16_e32 v41, 11, v48
	v_lshlrev_b32_e32 v46, 2, v36
	v_sub_u16_e32 v31, v31, v41
	global_load_dword v85, v46, s[12:13]
	v_lshlrev_b32_e32 v41, 2, v31
	global_load_dword v87, v41, s[12:13]
	v_add_u16_e32 v21, 0x302, v68
	v_mul_u32_u24_e32 v46, 0xba2f, v21
	v_lshrrev_b32_e32 v75, 19, v46
	v_mul_lo_u16_e32 v41, 11, v75
	v_sub_u16_e32 v77, v21, v41
	v_lshlrev_b32_e32 v21, 2, v77
	global_load_dword v78, v21, s[12:13]
	s_waitcnt lgkmcnt(2)
	v_lshrrev_b32_e32 v46, 16, v1
	v_lshrrev_b32_e32 v50, 16, v12
	;; [unrolled: 1-line block ×5, first 2 shown]
	s_waitcnt lgkmcnt(0)
	v_lshrrev_b32_e32 v89, 16, v8
	v_lshrrev_b32_e32 v91, 16, v9
	;; [unrolled: 1-line block ×6, first 2 shown]
	s_waitcnt vmcnt(0)
	s_barrier
	v_lshrrev_b32_e32 v90, 16, v0
	v_lshrrev_b32_e32 v53, 16, v7
	;; [unrolled: 1-line block ×3, first 2 shown]
	v_addc_co_u32_e64 v21, s[6:7], 0, 0, s[6:7]
	s_movk_i32 s16, 0x14a
	v_mul_f16_sdwa v92, v46, v81 dst_sel:DWORD dst_unused:UNUSED_PAD src0_sel:DWORD src1_sel:WORD_1
	v_fma_f16 v92, v1, v81, -v92
	v_mul_f16_sdwa v1, v1, v81 dst_sel:DWORD dst_unused:UNUSED_PAD src0_sel:DWORD src1_sel:WORD_1
	v_fma_f16 v1, v46, v81, v1
	v_mul_f16_sdwa v46, v50, v82 dst_sel:DWORD dst_unused:UNUSED_PAD src0_sel:DWORD src1_sel:WORD_1
	v_fma_f16 v46, v12, v82, -v46
	v_mul_f16_sdwa v12, v12, v82 dst_sel:DWORD dst_unused:UNUSED_PAD src0_sel:DWORD src1_sel:WORD_1
	v_fma_f16 v12, v50, v82, v12
	;; [unrolled: 4-line block ×4, first 2 shown]
	v_sub_f16_e32 v1, v41, v1
	v_sub_f16_e32 v46, v5, v46
	v_mul_f16_sdwa v54, v56, v85 dst_sel:DWORD dst_unused:UNUSED_PAD src0_sel:DWORD src1_sel:WORD_1
	v_fma_f16 v54, v11, v85, -v54
	v_mul_f16_sdwa v11, v11, v85 dst_sel:DWORD dst_unused:UNUSED_PAD src0_sel:DWORD src1_sel:WORD_1
	v_fma_f16 v11, v56, v85, v11
	v_mul_f16_sdwa v56, v89, v86 dst_sel:DWORD dst_unused:UNUSED_PAD src0_sel:DWORD src1_sel:WORD_1
	v_fma_f16 v56, v8, v86, -v56
	v_mul_f16_sdwa v8, v8, v86 dst_sel:DWORD dst_unused:UNUSED_PAD src0_sel:DWORD src1_sel:WORD_1
	v_fma_f16 v8, v89, v86, v8
	;; [unrolled: 4-line block ×4, first 2 shown]
	v_sub_f16_e32 v18, v4, v92
	v_fma_f16 v4, v4, 2.0, -v18
	v_fma_f16 v92, v41, 2.0, -v1
	v_sub_f16_e32 v8, v88, v8
	v_sub_f16_e32 v103, v15, v17
	v_mul_u32_u24_e32 v17, 22, v32
	v_sub_f16_e32 v12, v49, v12
	v_fma_f16 v94, v88, 2.0, -v8
	v_add_lshl_u32 v88, v17, v33, 2
	v_pack_b32_f16 v4, v4, v92
	v_pack_b32_f16 v1, v18, v1
	v_fma_f16 v5, v5, 2.0, -v46
	v_fma_f16 v49, v49, 2.0, -v12
	ds_write2_b32 v88, v4, v1 offset1:11
	v_mul_u32_u24_e32 v1, 22, v34
	v_sub_f16_e32 v50, v6, v50
	v_sub_f16_e32 v13, v51, v13
	;; [unrolled: 1-line block ×3, first 2 shown]
	v_add_lshl_u32 v89, v1, v35, 2
	v_pack_b32_f16 v1, v5, v49
	v_pack_b32_f16 v4, v46, v12
	v_fma_f16 v6, v6, 2.0, -v50
	v_fma_f16 v51, v51, 2.0, -v13
	v_sub_f16_e32 v9, v90, v9
	ds_write2_b32 v89, v1, v4 offset1:11
	v_mad_legacy_u16 v1, v38, 22, v39
	v_sub_f16_e32 v52, v7, v52
	v_sub_f16_e32 v10, v53, v10
	v_fma_f16 v96, v90, 2.0, -v9
	v_lshlrev_b32_e32 v90, 2, v1
	v_pack_b32_f16 v1, v6, v51
	v_pack_b32_f16 v4, v50, v13
	v_fma_f16 v7, v7, 2.0, -v52
	v_fma_f16 v53, v53, 2.0, -v10
	ds_write2_b32 v90, v1, v4 offset1:11
	v_mad_legacy_u16 v1, v43, 22, v44
	v_sub_f16_e32 v54, v2, v54
	v_sub_f16_e32 v11, v55, v11
	;; [unrolled: 1-line block ×3, first 2 shown]
	v_lshlrev_b32_e32 v91, 2, v1
	v_pack_b32_f16 v1, v7, v53
	v_pack_b32_f16 v4, v52, v10
	v_fma_f16 v2, v2, 2.0, -v54
	v_fma_f16 v55, v55, 2.0, -v11
	ds_write2_b32 v91, v1, v4 offset1:11
	v_mad_legacy_u16 v1, v45, 22, v36
	v_sub_f16_e32 v56, v3, v56
	v_lshlrev_b32_e32 v92, 2, v1
	v_pack_b32_f16 v1, v2, v55
	v_pack_b32_f16 v2, v54, v11
	v_fma_f16 v3, v3, 2.0, -v56
	ds_write2_b32 v92, v1, v2 offset1:11
	v_mad_legacy_u16 v1, v40, 22, v47
	v_lshlrev_b32_e32 v93, 2, v1
	v_pack_b32_f16 v1, v3, v94
	v_pack_b32_f16 v2, v56, v8
	v_fma_f16 v0, v0, 2.0, -v95
	ds_write2_b32 v93, v1, v2 offset1:11
	v_mad_legacy_u16 v1, v48, 22, v31
	v_lshlrev_b32_e32 v94, 2, v1
	v_pack_b32_f16 v0, v0, v96
	v_pack_b32_f16 v1, v95, v9
	ds_write2_b32 v94, v0, v1 offset1:11
	s_and_saveexec_b64 s[6:7], s[4:5]
	s_cbranch_execz .LBB0_11
; %bb.10:
	v_fma_f16 v0, v14, 2.0, -v41
	v_fma_f16 v1, v15, 2.0, -v103
	v_mad_legacy_u16 v2, v75, 22, v77
	s_mov_b32 s18, 0x5040100
	v_lshlrev_b32_e32 v2, 2, v2
	v_pack_b32_f16 v0, v0, v1
	v_perm_b32 v1, v103, v41, s18
	ds_write2_b32 v2, v0, v1 offset1:11
.LBB0_11:
	s_or_b64 exec, exec, s[6:7]
	v_lshrrev_b16_e32 v0, 1, v68
	v_and_b32_e32 v0, 0x7f, v0
	v_mul_lo_u16_e32 v0, 0xbb, v0
	v_lshrrev_b16_e32 v14, 11, v0
	v_mov_b32_e32 v1, 1
	v_mul_lo_u16_e32 v0, 22, v14
	v_lshrrev_b16_sdwa v1, v1, v16 dst_sel:DWORD dst_unused:UNUSED_PAD src0_sel:DWORD src1_sel:BYTE_0
	v_sub_u16_e32 v0, v68, v0
	v_mul_lo_u16_e32 v1, 0xbb, v1
	v_and_b32_e32 v15, 0xff, v0
	v_lshrrev_b16_e32 v17, 11, v1
	v_lshlrev_b32_e32 v0, 3, v15
	v_mul_lo_u16_e32 v1, 22, v17
	s_waitcnt lgkmcnt(0)
	s_barrier
	global_load_dwordx2 v[33:34], v0, s[12:13] offset:44
	v_sub_u16_e32 v0, v16, v1
	v_and_b32_e32 v18, 0xff, v0
	v_lshlrev_b32_e32 v0, 3, v18
	v_lshrrev_b32_e32 v43, 20, v22
	global_load_dwordx2 v[31:32], v0, s[12:13] offset:44
	v_mul_lo_u16_e32 v0, 22, v43
	v_sub_u16_e32 v44, v20, v0
	v_lshlrev_b16_e32 v0, 3, v44
	v_mov_b32_e32 v22, s13
	v_add_co_u32_e32 v0, vcc, s12, v0
	v_addc_co_u32_e32 v1, vcc, 0, v22, vcc
	v_lshrrev_b32_e32 v45, 20, v37
	global_load_dwordx2 v[35:36], v[0:1], off offset:44
	v_mul_lo_u16_e32 v0, 22, v45
	v_sub_u16_e32 v23, v23, v0
	v_lshlrev_b16_e32 v0, 3, v23
	v_add_co_u32_e32 v0, vcc, s12, v0
	v_addc_co_u32_e32 v1, vcc, 0, v22, vcc
	v_lshrrev_b32_e32 v46, 20, v29
	global_load_dwordx2 v[37:38], v[0:1], off offset:44
	v_mul_lo_u16_e32 v0, 22, v46
	v_sub_u16_e32 v19, v19, v0
	v_lshlrev_b16_e32 v0, 3, v19
	v_add_co_u32_e32 v0, vcc, s12, v0
	v_addc_co_u32_e32 v1, vcc, 0, v22, vcc
	global_load_dwordx2 v[39:40], v[0:1], off offset:44
	ds_read2_b32 v[0:1], v57 offset1:110
	v_add_u32_e32 v29, 0x600, v57
	v_add_u32_e32 v47, 0x1000, v57
	;; [unrolled: 1-line block ×6, first 2 shown]
	ds_read_b32 v52, v57 offset:6160
	ds_read2_b32 v[2:3], v29 offset0:56 offset1:166
	ds_read2_b32 v[4:5], v47 offset0:76 offset1:186
	ds_read2_b32 v[6:7], v49 offset0:20 offset1:130
	ds_read2_b32 v[8:9], v51 offset0:92 offset1:202
	ds_read2_b32 v[10:11], v50 offset0:40 offset1:150
	ds_read2_b32 v[12:13], v48 offset0:112 offset1:222
	s_waitcnt lgkmcnt(5)
	v_lshrrev_b32_e32 v56, 16, v3
	s_waitcnt lgkmcnt(4)
	v_lshrrev_b32_e32 v97, 16, v5
	;; [unrolled: 2-line block ×5, first 2 shown]
	v_lshrrev_b32_e32 v104, 16, v11
	v_lshrrev_b32_e32 v106, 16, v13
	;; [unrolled: 1-line block ×6, first 2 shown]
	s_movk_i32 s6, 0x3aee
	s_mov_b32 s7, 0xbaee
	v_lshrrev_b32_e32 v54, 16, v1
	v_lshrrev_b32_e32 v98, 16, v8
	;; [unrolled: 1-line block ×4, first 2 shown]
	v_mul_u32_u24_e32 v14, 0x42, v14
	s_waitcnt vmcnt(0)
	s_barrier
	s_movk_i32 s18, 0x42
	s_mov_b32 s20, 0xbb9c
	s_mov_b32 s21, 0xb8b4
	s_movk_i32 s19, 0x34f2
	v_mul_f16_sdwa v107, v56, v33 dst_sel:DWORD dst_unused:UNUSED_PAD src0_sel:DWORD src1_sel:WORD_1
	v_mul_f16_sdwa v108, v3, v33 dst_sel:DWORD dst_unused:UNUSED_PAD src0_sel:DWORD src1_sel:WORD_1
	v_fma_f16 v3, v3, v33, -v107
	v_mul_f16_sdwa v109, v95, v34 dst_sel:DWORD dst_unused:UNUSED_PAD src0_sel:DWORD src1_sel:WORD_1
	v_mul_f16_sdwa v110, v4, v34 dst_sel:DWORD dst_unused:UNUSED_PAD src0_sel:DWORD src1_sel:WORD_1
	;; [unrolled: 1-line block ×3, first 2 shown]
	v_fma_f16 v107, v5, v32, -v107
	v_mul_f16_sdwa v5, v5, v32 dst_sel:DWORD dst_unused:UNUSED_PAD src0_sel:DWORD src1_sel:WORD_1
	v_fma_f16 v5, v97, v32, v5
	v_fma_f16 v4, v4, v34, -v109
	v_fma_f16 v56, v56, v33, v108
	v_fma_f16 v95, v95, v34, v110
	v_add_f16_e32 v108, v3, v4
	v_mul_f16_sdwa v111, v96, v31 dst_sel:DWORD dst_unused:UNUSED_PAD src0_sel:DWORD src1_sel:WORD_1
	v_mul_f16_sdwa v112, v6, v31 dst_sel:DWORD dst_unused:UNUSED_PAD src0_sel:DWORD src1_sel:WORD_1
	;; [unrolled: 1-line block ×3, first 2 shown]
	v_fma_f16 v97, v7, v35, -v97
	v_mul_f16_sdwa v7, v7, v35 dst_sel:DWORD dst_unused:UNUSED_PAD src0_sel:DWORD src1_sel:WORD_1
	v_fma_f16 v7, v99, v35, v7
	v_mul_f16_sdwa v99, v100, v36 dst_sel:DWORD dst_unused:UNUSED_PAD src0_sel:DWORD src1_sel:WORD_1
	v_fma_f16 v99, v10, v36, -v99
	v_mul_f16_sdwa v10, v10, v36 dst_sel:DWORD dst_unused:UNUSED_PAD src0_sel:DWORD src1_sel:WORD_1
	v_fma_f16 v10, v100, v36, v10
	v_fma_f16 v6, v6, v31, -v111
	v_mul_f16_sdwa v100, v102, v37 dst_sel:DWORD dst_unused:UNUSED_PAD src0_sel:DWORD src1_sel:WORD_1
	v_fma_f16 v100, v12, v37, -v100
	v_mul_f16_sdwa v12, v12, v37 dst_sel:DWORD dst_unused:UNUSED_PAD src0_sel:DWORD src1_sel:WORD_1
	v_fma_f16 v12, v102, v37, v12
	v_mul_f16_sdwa v102, v104, v38 dst_sel:DWORD dst_unused:UNUSED_PAD src0_sel:DWORD src1_sel:WORD_1
	v_fma_f16 v102, v11, v38, -v102
	v_mul_f16_sdwa v11, v11, v38 dst_sel:DWORD dst_unused:UNUSED_PAD src0_sel:DWORD src1_sel:WORD_1
	v_fma_f16 v11, v104, v38, v11
	;; [unrolled: 4-line block ×4, first 2 shown]
	v_add_f16_e32 v55, v0, v3
	v_fma_f16 v0, v108, -0.5, v0
	v_sub_f16_e32 v108, v56, v95
	v_fma_f16 v109, v108, s6, v0
	v_fma_f16 v0, v108, s7, v0
	v_add_f16_e32 v108, v53, v56
	v_add_f16_e32 v56, v56, v95
	v_fma_f16 v96, v96, v31, v112
	v_fma_f16 v53, v56, -0.5, v53
	v_sub_f16_e32 v3, v3, v4
	v_add_f16_e32 v56, v6, v107
	v_add_f16_e32 v55, v55, v4
	v_fma_f16 v4, v3, s7, v53
	v_fma_f16 v3, v3, s6, v53
	v_add_f16_e32 v53, v1, v6
	v_fma_f16 v1, v56, -0.5, v1
	v_sub_f16_e32 v56, v96, v5
	v_fma_f16 v110, v56, s6, v1
	v_fma_f16 v1, v56, s7, v1
	v_add_f16_e32 v56, v54, v96
	v_add_f16_e32 v56, v56, v5
	;; [unrolled: 1-line block ×4, first 2 shown]
	v_fma_f16 v5, v5, -0.5, v54
	v_sub_f16_e32 v6, v6, v107
	v_add_f16_e32 v95, v97, v99
	v_fma_f16 v54, v6, s7, v5
	v_fma_f16 v5, v6, s6, v5
	v_add_f16_e32 v6, v8, v97
	v_fma_f16 v8, v95, -0.5, v8
	v_sub_f16_e32 v95, v7, v10
	v_add_f16_e32 v53, v53, v107
	v_fma_f16 v107, v95, s6, v8
	v_fma_f16 v8, v95, s7, v8
	v_add_f16_e32 v95, v98, v7
	v_add_f16_e32 v7, v7, v10
	;; [unrolled: 1-line block ×3, first 2 shown]
	v_fma_f16 v7, v7, -0.5, v98
	v_sub_f16_e32 v10, v97, v99
	v_add_f16_e32 v95, v100, v102
	v_fma_f16 v98, v10, s7, v7
	v_fma_f16 v7, v10, s6, v7
	v_add_f16_e32 v10, v9, v100
	v_fma_f16 v9, v95, -0.5, v9
	v_sub_f16_e32 v95, v12, v11
	v_add_f16_e32 v6, v6, v99
	v_fma_f16 v99, v95, s6, v9
	v_fma_f16 v9, v95, s7, v9
	v_add_f16_e32 v95, v101, v12
	v_add_f16_e32 v112, v95, v11
	v_add_f16_e32 v11, v12, v11
	v_fma_f16 v11, v11, -0.5, v101
	v_sub_f16_e32 v12, v100, v102
	v_add_f16_e32 v95, v104, v106
	v_fma_f16 v100, v12, s7, v11
	v_fma_f16 v11, v12, s6, v11
	v_add_f16_e32 v12, v2, v104
	v_fma_f16 v2, v95, -0.5, v2
	v_sub_f16_e32 v95, v13, v52
	v_fma_f16 v101, v95, s6, v2
	v_fma_f16 v2, v95, s7, v2
	v_add_f16_e32 v95, v105, v13
	v_add_f16_e32 v10, v10, v102
	;; [unrolled: 1-line block ×3, first 2 shown]
	v_add_lshl_u32 v95, v14, v15, 2
	v_pack_b32_f16 v0, v0, v3
	ds_write_b32 v95, v0 offset:176
	v_mul_u32_u24_e32 v0, 0x42, v17
	v_pack_b32_f16 v14, v55, v108
	v_pack_b32_f16 v4, v109, v4
	v_add_lshl_u32 v96, v0, v18, 2
	v_pack_b32_f16 v0, v53, v56
	v_pack_b32_f16 v3, v110, v54
	ds_write2_b32 v95, v14, v4 offset1:22
	ds_write2_b32 v96, v0, v3 offset1:22
	v_pack_b32_f16 v0, v1, v5
	ds_write_b32 v96, v0 offset:176
	v_mad_legacy_u16 v0, v43, s18, v44
	v_lshlrev_b32_e32 v97, 2, v0
	v_pack_b32_f16 v0, v6, v111
	v_pack_b32_f16 v1, v107, v98
	ds_write2_b32 v97, v0, v1 offset1:22
	v_pack_b32_f16 v0, v8, v7
	ds_write_b32 v97, v0 offset:176
	v_mad_legacy_u16 v0, v45, s18, v23
	v_add_f16_e32 v13, v13, v52
	v_lshlrev_b32_e32 v98, 2, v0
	v_pack_b32_f16 v0, v10, v112
	v_pack_b32_f16 v1, v99, v100
	v_fma_f16 v13, v13, -0.5, v105
	v_sub_f16_e32 v52, v104, v106
	ds_write2_b32 v98, v0, v1 offset1:22
	v_pack_b32_f16 v0, v9, v11
	v_add_f16_e32 v12, v12, v106
	v_fma_f16 v104, v52, s7, v13
	ds_write_b32 v98, v0 offset:176
	v_mad_legacy_u16 v0, v46, s18, v19
	v_fma_f16 v13, v52, s6, v13
	v_lshlrev_b32_e32 v99, 2, v0
	v_pack_b32_f16 v0, v12, v102
	v_pack_b32_f16 v1, v101, v104
	ds_write2_b32 v99, v0, v1 offset1:22
	v_pack_b32_f16 v0, v2, v13
	s_movk_i32 s6, 0xffbe
	ds_write_b32 v99, v0 offset:176
	v_add_co_u32_e32 v0, vcc, s6, v68
	v_addc_co_u32_e64 v1, s[6:7], 0, -1, vcc
	v_cmp_gt_u16_e32 vcc, s18, v68
	v_cndmask_b32_e64 v13, v1, 0, vcc
	v_cndmask_b32_e32 v12, v0, v68, vcc
	v_lshlrev_b64 v[0:1], 4, v[12:13]
	s_waitcnt lgkmcnt(0)
	v_add_co_u32_e32 v0, vcc, s12, v0
	v_addc_co_u32_e32 v1, vcc, v22, v1, vcc
	s_barrier
	global_load_dwordx4 v[0:3], v[0:1], off offset:220
	s_movk_i32 s6, 0xf9
	v_mul_lo_u16_sdwa v4, v16, s6 dst_sel:DWORD dst_unused:UNUSED_PAD src0_sel:BYTE_0 src1_sel:DWORD
	v_lshrrev_b16_e32 v15, 14, v4
	v_mul_lo_u16_e32 v4, 0x42, v15
	v_sub_u16_e32 v4, v16, v4
	v_and_b32_e32 v19, 0xff, v4
	v_lshlrev_b32_e32 v4, 4, v19
	global_load_dwordx4 v[4:7], v4, s[12:13] offset:220
	s_mov_b32 s6, 0xf83f
	v_mul_u32_u24_sdwa v8, v20, s6 dst_sel:DWORD dst_unused:UNUSED_PAD src0_sel:WORD_0 src1_sel:DWORD
	v_lshrrev_b32_e32 v23, 22, v8
	v_mul_lo_u16_e32 v8, 0x42, v23
	v_sub_u16_e32 v56, v20, v8
	v_lshlrev_b16_e32 v8, 4, v56
	v_add_co_u32_e32 v8, vcc, s12, v8
	v_addc_co_u32_e32 v9, vcc, 0, v22, vcc
	global_load_dwordx4 v[8:11], v[8:9], off offset:220
	ds_read2_b32 v[13:14], v57 offset1:110
	ds_read2_b32 v[17:18], v51 offset0:92 offset1:202
	ds_read2_b32 v[43:44], v49 offset0:20 offset1:130
	;; [unrolled: 1-line block ×5, first 2 shown]
	s_waitcnt lgkmcnt(4)
	v_lshrrev_b32_e32 v104, 16, v18
	s_waitcnt lgkmcnt(3)
	v_lshrrev_b32_e32 v105, 16, v43
	;; [unrolled: 2-line block ×4, first 2 shown]
	ds_read2_b32 v[100:101], v47 offset0:76 offset1:186
	s_waitcnt lgkmcnt(1)
	v_lshrrev_b32_e32 v109, 16, v54
	v_lshrrev_b32_e32 v110, 16, v44
	;; [unrolled: 1-line block ×4, first 2 shown]
	s_waitcnt lgkmcnt(0)
	v_lshrrev_b32_e32 v111, 16, v100
	ds_read_b32 v113, v57 offset:6160
	v_lshrrev_b32_e32 v116, 16, v45
	v_lshrrev_b32_e32 v117, 16, v101
	s_movk_i32 s18, 0x3b9c
	s_movk_i32 s7, 0x38b4
	s_waitcnt lgkmcnt(0)
	v_lshrrev_b32_e32 v118, 16, v113
	v_lshrrev_b32_e32 v102, 16, v13
	;; [unrolled: 1-line block ×4, first 2 shown]
	s_movk_i32 s6, 0x41
	v_cmp_lt_u16_e32 vcc, s6, v68
	s_waitcnt vmcnt(0)
	s_barrier
	v_lshlrev_b32_e32 v16, 4, v16
	v_lshlrev_b64 v[20:21], 4, v[20:21]
	s_movk_i32 s6, 0x1000
	v_mul_f16_sdwa v119, v104, v0 dst_sel:DWORD dst_unused:UNUSED_PAD src0_sel:DWORD src1_sel:WORD_1
	v_fma_f16 v119, v18, v0, -v119
	v_mul_f16_sdwa v18, v18, v0 dst_sel:DWORD dst_unused:UNUSED_PAD src0_sel:DWORD src1_sel:WORD_1
	v_fma_f16 v18, v104, v0, v18
	v_mul_f16_sdwa v104, v105, v1 dst_sel:DWORD dst_unused:UNUSED_PAD src0_sel:DWORD src1_sel:WORD_1
	v_fma_f16 v104, v43, v1, -v104
	v_mul_f16_sdwa v43, v43, v1 dst_sel:DWORD dst_unused:UNUSED_PAD src0_sel:DWORD src1_sel:WORD_1
	v_fma_f16 v43, v105, v1, v43
	;; [unrolled: 4-line block ×10, first 2 shown]
	v_mul_f16_sdwa v116, v117, v10 dst_sel:DWORD dst_unused:UNUSED_PAD src0_sel:DWORD src1_sel:WORD_1
	v_add_f16_e32 v120, v104, v105
	v_fma_f16 v116, v101, v10, -v116
	v_mul_f16_sdwa v101, v101, v10 dst_sel:DWORD dst_unused:UNUSED_PAD src0_sel:DWORD src1_sel:WORD_1
	v_fma_f16 v120, v120, -0.5, v13
	v_sub_f16_e32 v121, v18, v52
	v_fma_f16 v101, v117, v10, v101
	v_mul_f16_sdwa v117, v118, v11 dst_sel:DWORD dst_unused:UNUSED_PAD src0_sel:DWORD src1_sel:WORD_1
	v_fma_f16 v122, v121, s18, v120
	v_sub_f16_e32 v123, v43, v46
	v_sub_f16_e32 v124, v119, v104
	;; [unrolled: 1-line block ×3, first 2 shown]
	v_fma_f16 v120, v121, s20, v120
	v_fma_f16 v117, v113, v11, -v117
	v_mul_f16_sdwa v113, v113, v11 dst_sel:DWORD dst_unused:UNUSED_PAD src0_sel:DWORD src1_sel:WORD_1
	v_fma_f16 v122, v123, s7, v122
	v_add_f16_e32 v124, v124, v125
	v_fma_f16 v120, v123, s21, v120
	v_fma_f16 v113, v118, v11, v113
	v_add_f16_e32 v118, v13, v119
	v_fma_f16 v122, v124, s19, v122
	v_fma_f16 v120, v124, s19, v120
	v_add_f16_e32 v124, v119, v106
	v_add_f16_e32 v118, v118, v104
	v_fma_f16 v13, v124, -0.5, v13
	v_add_f16_e32 v118, v118, v105
	v_fma_f16 v124, v123, s20, v13
	v_fma_f16 v13, v123, s18, v13
	v_add_f16_e32 v123, v43, v46
	v_add_f16_e32 v118, v118, v106
	v_sub_f16_e32 v125, v104, v119
	v_sub_f16_e32 v126, v105, v106
	v_fma_f16 v123, v123, -0.5, v102
	v_sub_f16_e32 v106, v119, v106
	v_fma_f16 v124, v121, s7, v124
	v_add_f16_e32 v125, v125, v126
	v_fma_f16 v13, v121, s21, v13
	v_fma_f16 v119, v106, s20, v123
	v_sub_f16_e32 v104, v104, v105
	v_fma_f16 v124, v125, s19, v124
	v_fma_f16 v13, v125, s19, v13
	;; [unrolled: 1-line block ×3, first 2 shown]
	v_sub_f16_e32 v119, v18, v43
	v_sub_f16_e32 v125, v52, v46
	v_fma_f16 v123, v106, s18, v123
	v_add_f16_e32 v121, v102, v18
	v_add_f16_e32 v119, v119, v125
	v_fma_f16 v123, v104, s7, v123
	v_add_f16_e32 v121, v121, v43
	v_fma_f16 v105, v119, s19, v105
	v_fma_f16 v119, v119, s19, v123
	v_add_f16_e32 v123, v18, v52
	v_add_f16_e32 v121, v121, v46
	v_fma_f16 v102, v123, -0.5, v102
	v_add_f16_e32 v121, v121, v52
	v_fma_f16 v123, v104, s18, v102
	v_sub_f16_e32 v18, v43, v18
	v_sub_f16_e32 v43, v46, v52
	v_add_f16_e32 v52, v109, v110
	v_fma_f16 v123, v106, s21, v123
	v_add_f16_e32 v18, v18, v43
	v_fma_f16 v46, v104, s20, v102
	v_fma_f16 v52, v52, -0.5, v14
	v_sub_f16_e32 v102, v54, v53
	v_fma_f16 v43, v18, s19, v123
	v_fma_f16 v46, v106, s7, v46
	;; [unrolled: 1-line block ×3, first 2 shown]
	v_sub_f16_e32 v106, v44, v100
	v_sub_f16_e32 v123, v107, v109
	;; [unrolled: 1-line block ×3, first 2 shown]
	v_fma_f16 v52, v102, s20, v52
	v_fma_f16 v104, v106, s7, v104
	v_add_f16_e32 v123, v123, v125
	v_fma_f16 v52, v106, s21, v52
	v_fma_f16 v104, v123, s19, v104
	;; [unrolled: 1-line block ×3, first 2 shown]
	v_add_f16_e32 v123, v107, v111
	v_fma_f16 v18, v18, s19, v46
	v_add_f16_e32 v46, v14, v107
	v_fma_f16 v14, v123, -0.5, v14
	v_add_f16_e32 v46, v46, v109
	v_fma_f16 v123, v106, s20, v14
	v_fma_f16 v14, v106, s18, v14
	v_add_f16_e32 v106, v44, v100
	v_add_f16_e32 v46, v46, v110
	v_sub_f16_e32 v125, v109, v107
	v_sub_f16_e32 v126, v110, v111
	v_fma_f16 v106, v106, -0.5, v108
	v_sub_f16_e32 v107, v107, v111
	v_add_f16_e32 v46, v46, v111
	v_fma_f16 v123, v102, s7, v123
	v_add_f16_e32 v125, v125, v126
	v_fma_f16 v14, v102, s21, v14
	v_fma_f16 v111, v107, s20, v106
	v_sub_f16_e32 v109, v109, v110
	v_fma_f16 v123, v125, s19, v123
	v_fma_f16 v14, v125, s19, v14
	;; [unrolled: 1-line block ×3, first 2 shown]
	v_sub_f16_e32 v111, v54, v44
	v_sub_f16_e32 v125, v53, v100
	v_fma_f16 v106, v107, s18, v106
	v_add_f16_e32 v102, v108, v54
	v_add_f16_e32 v111, v111, v125
	v_fma_f16 v106, v109, s7, v106
	v_add_f16_e32 v102, v102, v44
	v_fma_f16 v110, v111, s19, v110
	v_fma_f16 v106, v111, s19, v106
	v_add_f16_e32 v111, v54, v53
	v_add_f16_e32 v102, v102, v100
	v_fma_f16 v108, v111, -0.5, v108
	v_add_f16_e32 v102, v102, v53
	v_fma_f16 v111, v109, s18, v108
	v_sub_f16_e32 v44, v44, v54
	v_sub_f16_e32 v53, v100, v53
	v_fma_f16 v54, v109, s20, v108
	v_add_f16_e32 v100, v115, v116
	v_fma_f16 v111, v107, s21, v111
	v_add_f16_e32 v44, v44, v53
	v_fma_f16 v54, v107, s7, v54
	v_fma_f16 v100, v100, -0.5, v17
	v_sub_f16_e32 v107, v55, v113
	v_fma_f16 v53, v44, s19, v111
	v_fma_f16 v108, v107, s18, v100
	v_sub_f16_e32 v109, v45, v101
	v_sub_f16_e32 v111, v112, v115
	v_sub_f16_e32 v125, v117, v116
	v_fma_f16 v100, v107, s20, v100
	v_fma_f16 v108, v109, s7, v108
	v_add_f16_e32 v111, v111, v125
	v_fma_f16 v100, v109, s21, v100
	v_fma_f16 v108, v111, s19, v108
	;; [unrolled: 1-line block ×3, first 2 shown]
	v_add_f16_e32 v100, v112, v117
	v_fma_f16 v44, v44, s19, v54
	v_add_f16_e32 v54, v17, v112
	v_fma_f16 v17, v100, -0.5, v17
	v_fma_f16 v100, v109, s20, v17
	v_sub_f16_e32 v125, v115, v112
	v_sub_f16_e32 v126, v116, v117
	v_fma_f16 v100, v107, s7, v100
	v_add_f16_e32 v125, v125, v126
	v_fma_f16 v126, v125, s19, v100
	v_add_f16_e32 v100, v114, v55
	v_add_f16_e32 v100, v100, v45
	v_fma_f16 v17, v109, s18, v17
	v_add_f16_e32 v100, v100, v101
	;; [unrolled: 3-line block ×3, first 2 shown]
	v_add_f16_e32 v100, v45, v101
	v_add_f16_e32 v54, v54, v116
	v_fma_f16 v100, v100, -0.5, v114
	v_sub_f16_e32 v109, v112, v117
	v_add_f16_e32 v54, v54, v117
	v_fma_f16 v112, v109, s20, v100
	v_sub_f16_e32 v115, v115, v116
	v_sub_f16_e32 v116, v55, v45
	;; [unrolled: 1-line block ×3, first 2 shown]
	v_fma_f16 v100, v109, s18, v100
	v_fma_f16 v112, v115, s21, v112
	v_add_f16_e32 v116, v116, v117
	v_fma_f16 v100, v115, s7, v100
	v_fma_f16 v112, v116, s19, v112
	;; [unrolled: 1-line block ×3, first 2 shown]
	v_add_f16_e32 v100, v55, v113
	v_fma_f16 v100, v100, -0.5, v114
	v_fma_f16 v114, v115, s18, v100
	v_sub_f16_e32 v45, v45, v55
	v_sub_f16_e32 v55, v101, v113
	v_fma_f16 v100, v115, s20, v100
	v_fma_f16 v114, v109, s21, v114
	v_add_f16_e32 v45, v45, v55
	v_fma_f16 v100, v109, s7, v100
	v_fma_f16 v55, v45, s19, v114
	;; [unrolled: 1-line block ×3, first 2 shown]
	v_mov_b32_e32 v100, 0x14a
	v_cndmask_b32_e32 v100, 0, v100, vcc
	v_add_lshl_u32 v100, v12, v100, 2
	v_pack_b32_f16 v12, v118, v121
	v_pack_b32_f16 v101, v122, v105
	ds_write2_b32 v100, v12, v101 offset1:66
	v_pack_b32_f16 v12, v124, v43
	v_pack_b32_f16 v13, v13, v18
	ds_write2_b32 v100, v12, v13 offset0:132 offset1:198
	v_pack_b32_f16 v12, v120, v119
	ds_write_b32 v100, v12 offset:1056
	v_mul_u32_u24_e32 v12, 0x14a, v15
	v_add_lshl_u32 v101, v12, v19, 2
	v_pack_b32_f16 v12, v46, v102
	v_pack_b32_f16 v13, v104, v110
	ds_write2_b32 v101, v12, v13 offset1:66
	v_pack_b32_f16 v12, v123, v53
	v_pack_b32_f16 v13, v14, v44
	ds_write2_b32 v101, v12, v13 offset0:132 offset1:198
	v_pack_b32_f16 v12, v52, v106
	ds_write_b32 v101, v12 offset:1056
	v_mad_legacy_u16 v12, v23, s16, v56
	v_fma_f16 v17, v125, s19, v17
	v_lshlrev_b32_e32 v102, 2, v12
	v_pack_b32_f16 v12, v54, v107
	v_pack_b32_f16 v13, v108, v112
	ds_write2_b32 v102, v12, v13 offset1:66
	v_pack_b32_f16 v12, v126, v55
	v_pack_b32_f16 v13, v17, v45
	ds_write2_b32 v102, v12, v13 offset0:132 offset1:198
	v_pack_b32_f16 v12, v111, v116
	ds_write_b32 v102, v12 offset:1056
	v_lshlrev_b32_e32 v12, 4, v68
	s_waitcnt lgkmcnt(0)
	s_barrier
	global_load_dwordx4 v[12:15], v12, s[12:13] offset:1276
	v_add_co_u32_e32 v20, vcc, s12, v20
	global_load_dwordx4 v[16:19], v16, s[12:13] offset:1276
	v_addc_co_u32_e32 v21, vcc, v22, v21, vcc
	global_load_dwordx4 v[20:23], v[20:21], off offset:1276
	v_mov_b32_e32 v45, s17
	v_addc_co_u32_e64 v56, vcc, 0, v45, s[2:3]
	ds_read2_b32 v[45:46], v51 offset0:92 offset1:202
	ds_read2_b32 v[52:53], v49 offset0:20 offset1:130
	;; [unrolled: 1-line block ×5, first 2 shown]
	s_waitcnt lgkmcnt(4)
	v_lshrrev_b32_e32 v111, 16, v46
	s_waitcnt lgkmcnt(3)
	v_lshrrev_b32_e32 v112, 16, v52
	;; [unrolled: 2-line block ×4, first 2 shown]
	ds_read2_b32 v[108:109], v47 offset0:76 offset1:186
	s_waitcnt lgkmcnt(1)
	v_lshrrev_b32_e32 v116, 16, v106
	v_lshrrev_b32_e32 v117, 16, v53
	;; [unrolled: 1-line block ×3, first 2 shown]
	ds_read2_b32 v[43:44], v57 offset1:110
	s_waitcnt lgkmcnt(1)
	v_lshrrev_b32_e32 v118, 16, v108
	v_lshrrev_b32_e32 v122, 16, v107
	ds_read_b32 v120, v57 offset:6160
	v_lshrrev_b32_e32 v123, 16, v54
	v_lshrrev_b32_e32 v124, 16, v109
	s_waitcnt lgkmcnt(1)
	v_lshrrev_b32_e32 v110, 16, v43
	v_lshrrev_b32_e32 v115, 16, v44
	s_waitcnt lgkmcnt(0)
	v_lshrrev_b32_e32 v125, 16, v120
	v_lshrrev_b32_e32 v121, 16, v45
	s_movk_i32 s2, 0x19c8
	s_waitcnt vmcnt(2)
	v_mul_f16_sdwa v126, v111, v12 dst_sel:DWORD dst_unused:UNUSED_PAD src0_sel:DWORD src1_sel:WORD_1
	v_fma_f16 v126, v46, v12, -v126
	v_mul_f16_sdwa v46, v46, v12 dst_sel:DWORD dst_unused:UNUSED_PAD src0_sel:DWORD src1_sel:WORD_1
	v_fma_f16 v46, v111, v12, v46
	v_mul_f16_sdwa v111, v112, v13 dst_sel:DWORD dst_unused:UNUSED_PAD src0_sel:DWORD src1_sel:WORD_1
	v_fma_f16 v111, v52, v13, -v111
	v_mul_f16_sdwa v52, v52, v13 dst_sel:DWORD dst_unused:UNUSED_PAD src0_sel:DWORD src1_sel:WORD_1
	v_fma_f16 v52, v112, v13, v52
	;; [unrolled: 4-line block ×4, first 2 shown]
	s_waitcnt vmcnt(1)
	v_mul_f16_sdwa v114, v116, v16 dst_sel:DWORD dst_unused:UNUSED_PAD src0_sel:DWORD src1_sel:WORD_1
	v_fma_f16 v114, v106, v16, -v114
	v_mul_f16_sdwa v106, v106, v16 dst_sel:DWORD dst_unused:UNUSED_PAD src0_sel:DWORD src1_sel:WORD_1
	v_fma_f16 v106, v116, v16, v106
	v_mul_f16_sdwa v116, v117, v17 dst_sel:DWORD dst_unused:UNUSED_PAD src0_sel:DWORD src1_sel:WORD_1
	v_fma_f16 v116, v53, v17, -v116
	v_mul_f16_sdwa v53, v53, v17 dst_sel:DWORD dst_unused:UNUSED_PAD src0_sel:DWORD src1_sel:WORD_1
	v_fma_f16 v53, v117, v17, v53
	;; [unrolled: 4-line block ×4, first 2 shown]
	s_waitcnt vmcnt(0)
	v_mul_f16_sdwa v119, v122, v20 dst_sel:DWORD dst_unused:UNUSED_PAD src0_sel:DWORD src1_sel:WORD_1
	v_fma_f16 v119, v107, v20, -v119
	v_mul_f16_sdwa v107, v107, v20 dst_sel:DWORD dst_unused:UNUSED_PAD src0_sel:DWORD src1_sel:WORD_1
	v_fma_f16 v107, v122, v20, v107
	v_mul_f16_sdwa v122, v123, v21 dst_sel:DWORD dst_unused:UNUSED_PAD src0_sel:DWORD src1_sel:WORD_1
	v_fma_f16 v122, v54, v21, -v122
	v_mul_f16_sdwa v54, v54, v21 dst_sel:DWORD dst_unused:UNUSED_PAD src0_sel:DWORD src1_sel:WORD_1
	v_add_f16_e32 v127, v111, v112
	v_fma_f16 v54, v123, v21, v54
	v_mul_f16_sdwa v123, v124, v22 dst_sel:DWORD dst_unused:UNUSED_PAD src0_sel:DWORD src1_sel:WORD_1
	v_fma_f16 v127, v127, -0.5, v43
	v_sub_f16_e32 v128, v46, v104
	v_fma_f16 v123, v109, v22, -v123
	v_mul_f16_sdwa v109, v109, v22 dst_sel:DWORD dst_unused:UNUSED_PAD src0_sel:DWORD src1_sel:WORD_1
	v_fma_f16 v129, v128, s18, v127
	v_sub_f16_e32 v130, v52, v55
	v_sub_f16_e32 v131, v126, v111
	;; [unrolled: 1-line block ×3, first 2 shown]
	v_fma_f16 v127, v128, s20, v127
	v_fma_f16 v109, v124, v22, v109
	v_mul_f16_sdwa v124, v125, v23 dst_sel:DWORD dst_unused:UNUSED_PAD src0_sel:DWORD src1_sel:WORD_1
	v_fma_f16 v129, v130, s7, v129
	v_add_f16_e32 v131, v131, v132
	v_fma_f16 v127, v130, s21, v127
	v_fma_f16 v124, v120, v23, -v124
	v_mul_f16_sdwa v120, v120, v23 dst_sel:DWORD dst_unused:UNUSED_PAD src0_sel:DWORD src1_sel:WORD_1
	v_fma_f16 v129, v131, s19, v129
	v_fma_f16 v127, v131, s19, v127
	v_add_f16_e32 v131, v126, v113
	v_fma_f16 v120, v125, v23, v120
	v_add_f16_e32 v125, v43, v126
	v_fma_f16 v43, v131, -0.5, v43
	v_fma_f16 v131, v130, s20, v43
	v_sub_f16_e32 v132, v111, v126
	v_sub_f16_e32 v133, v112, v113
	v_fma_f16 v43, v130, s18, v43
	v_add_f16_e32 v132, v132, v133
	v_fma_f16 v43, v128, s21, v43
	v_fma_f16 v131, v128, s7, v131
	;; [unrolled: 1-line block ×3, first 2 shown]
	v_add_f16_e32 v43, v110, v46
	v_add_f16_e32 v43, v43, v52
	;; [unrolled: 1-line block ×8, first 2 shown]
	v_fma_f16 v43, v43, -0.5, v110
	v_sub_f16_e32 v113, v126, v113
	v_fma_f16 v126, v113, s20, v43
	v_sub_f16_e32 v111, v111, v112
	v_fma_f16 v131, v132, s19, v131
	v_fma_f16 v112, v111, s21, v126
	v_sub_f16_e32 v126, v46, v52
	v_sub_f16_e32 v132, v104, v55
	v_fma_f16 v43, v113, s18, v43
	v_add_f16_e32 v126, v126, v132
	v_fma_f16 v43, v111, s7, v43
	v_fma_f16 v112, v126, s19, v112
	;; [unrolled: 1-line block ×3, first 2 shown]
	v_add_f16_e32 v43, v46, v104
	v_fma_f16 v43, v43, -0.5, v110
	v_fma_f16 v110, v111, s18, v43
	v_sub_f16_e32 v46, v52, v46
	v_sub_f16_e32 v52, v55, v104
	v_fma_f16 v43, v111, s20, v43
	v_add_f16_e32 v46, v46, v52
	v_fma_f16 v43, v113, s7, v43
	v_fma_f16 v55, v46, s19, v43
	v_add_f16_e32 v43, v44, v114
	v_add_f16_e32 v43, v43, v116
	v_fma_f16 v110, v113, s21, v110
	v_add_f16_e32 v43, v43, v117
	v_fma_f16 v52, v46, s19, v110
	v_add_f16_e32 v110, v43, v118
	v_add_f16_e32 v43, v116, v117
	v_fma_f16 v43, v43, -0.5, v44
	v_sub_f16_e32 v46, v106, v105
	v_fma_f16 v104, v46, s18, v43
	v_sub_f16_e32 v111, v53, v108
	v_sub_f16_e32 v113, v114, v116
	;; [unrolled: 1-line block ×3, first 2 shown]
	v_fma_f16 v43, v46, s20, v43
	v_fma_f16 v104, v111, s7, v104
	v_add_f16_e32 v113, v113, v132
	v_fma_f16 v43, v111, s21, v43
	v_fma_f16 v132, v113, s19, v104
	;; [unrolled: 1-line block ×3, first 2 shown]
	v_add_f16_e32 v43, v114, v118
	v_fma_f16 v43, v43, -0.5, v44
	v_fma_f16 v44, v111, s20, v43
	v_sub_f16_e32 v104, v116, v114
	v_sub_f16_e32 v133, v117, v118
	v_fma_f16 v43, v111, s18, v43
	v_add_f16_e32 v104, v104, v133
	v_fma_f16 v43, v46, s21, v43
	v_fma_f16 v111, v104, s19, v43
	v_add_f16_e32 v43, v115, v106
	v_add_f16_e32 v43, v43, v53
	;; [unrolled: 1-line block ×3, first 2 shown]
	v_fma_f16 v44, v46, s7, v44
	v_add_f16_e32 v134, v43, v105
	v_add_f16_e32 v43, v53, v108
	v_fma_f16 v133, v104, s19, v44
	v_fma_f16 v43, v43, -0.5, v115
	v_sub_f16_e32 v44, v114, v118
	v_fma_f16 v46, v44, s20, v43
	v_sub_f16_e32 v104, v116, v117
	v_sub_f16_e32 v114, v106, v53
	;; [unrolled: 1-line block ×3, first 2 shown]
	v_fma_f16 v43, v44, s18, v43
	v_fma_f16 v46, v104, s21, v46
	v_add_f16_e32 v114, v114, v116
	v_fma_f16 v43, v104, s7, v43
	v_fma_f16 v116, v114, s19, v46
	;; [unrolled: 1-line block ×3, first 2 shown]
	v_add_f16_e32 v43, v106, v105
	v_fma_f16 v43, v43, -0.5, v115
	v_fma_f16 v46, v104, s18, v43
	v_sub_f16_e32 v53, v53, v106
	v_sub_f16_e32 v105, v108, v105
	v_fma_f16 v43, v104, s20, v43
	v_fma_f16 v46, v44, s21, v46
	v_add_f16_e32 v53, v53, v105
	v_fma_f16 v43, v44, s7, v43
	v_fma_f16 v108, v53, s19, v46
	;; [unrolled: 1-line block ×3, first 2 shown]
	v_add_f16_e32 v43, v45, v119
	v_add_f16_e32 v43, v43, v122
	v_add_f16_e32 v43, v43, v123
	v_add_f16_e32 v115, v43, v124
	v_add_f16_e32 v43, v122, v123
	v_fma_f16 v44, v43, -0.5, v45
	v_sub_f16_e32 v104, v107, v120
	v_fma_f16 v43, v104, s18, v44
	v_sub_f16_e32 v105, v54, v109
	v_sub_f16_e32 v46, v119, v122
	;; [unrolled: 1-line block ×3, first 2 shown]
	v_fma_f16 v44, v104, s20, v44
	v_fma_f16 v43, v105, s7, v43
	v_add_f16_e32 v46, v46, v106
	v_fma_f16 v44, v105, s21, v44
	v_fma_f16 v43, v46, s19, v43
	;; [unrolled: 1-line block ×3, first 2 shown]
	v_add_f16_e32 v44, v119, v124
	v_fma_f16 v45, v44, -0.5, v45
	v_fma_f16 v44, v105, s20, v45
	v_fma_f16 v45, v105, s18, v45
	;; [unrolled: 1-line block ×4, first 2 shown]
	v_add_f16_e32 v104, v121, v107
	v_add_f16_e32 v104, v104, v54
	v_sub_f16_e32 v106, v122, v119
	v_sub_f16_e32 v117, v123, v124
	v_add_f16_e32 v104, v104, v109
	v_add_f16_e32 v106, v106, v117
	;; [unrolled: 1-line block ×4, first 2 shown]
	v_fma_f16 v105, v104, -0.5, v121
	v_sub_f16_e32 v118, v119, v124
	v_fma_f16 v44, v106, s19, v44
	v_fma_f16 v45, v106, s19, v45
	;; [unrolled: 1-line block ×3, first 2 shown]
	v_sub_f16_e32 v119, v122, v123
	v_sub_f16_e32 v106, v107, v54
	;; [unrolled: 1-line block ×3, first 2 shown]
	v_fma_f16 v105, v118, s18, v105
	v_fma_f16 v104, v119, s21, v104
	v_add_f16_e32 v106, v106, v122
	v_fma_f16 v105, v119, s7, v105
	v_fma_f16 v104, v106, s19, v104
	;; [unrolled: 1-line block ×3, first 2 shown]
	v_add_f16_e32 v106, v107, v120
	v_fma_f16 v121, v106, -0.5, v121
	v_sub_f16_e32 v54, v54, v107
	v_sub_f16_e32 v107, v109, v120
	v_fma_f16 v106, v119, s18, v121
	v_add_f16_e32 v54, v54, v107
	v_fma_f16 v107, v119, s20, v121
	v_pack_b32_f16 v52, v131, v52
	v_pack_b32_f16 v108, v133, v108
	v_fma_f16 v106, v118, s21, v106
	v_fma_f16 v107, v118, s7, v107
	v_pack_b32_f16 v109, v129, v112
	v_pack_b32_f16 v112, v127, v126
	ds_write2_b32 v49, v52, v108 offset0:20 offset1:130
	v_pack_b32_f16 v52, v111, v53
	v_pack_b32_f16 v53, v113, v114
	v_fma_f16 v106, v54, s19, v106
	v_fma_f16 v107, v54, s19, v107
	v_pack_b32_f16 v54, v125, v130
	v_pack_b32_f16 v110, v110, v134
	ds_write2_b32 v50, v112, v53 offset0:40 offset1:150
	v_pack_b32_f16 v53, v115, v117
	ds_write2_b32 v57, v54, v110 offset1:110
	v_pack_b32_f16 v54, v132, v116
	ds_write2_b32 v51, v53, v109 offset0:92 offset1:202
	v_pack_b32_f16 v51, v43, v104
	v_pack_b32_f16 v55, v128, v55
	ds_write2_b32 v29, v54, v51 offset0:56 offset1:166
	v_pack_b32_f16 v51, v44, v106
	ds_write2_b32 v48, v51, v55 offset0:112 offset1:222
	;; [unrolled: 2-line block ×3, first 2 shown]
	v_pack_b32_f16 v47, v46, v105
	ds_write_b32 v57, v47 offset:6160
	v_add_co_u32_e32 v47, vcc, s6, v24
	v_addc_co_u32_e32 v48, vcc, 0, v56, vcc
	s_waitcnt lgkmcnt(0)
	s_barrier
	global_load_dword v55, v[47:48], off offset:2504
	v_add_co_u32_e32 v47, vcc, s2, v24
	v_addc_co_u32_e32 v48, vcc, 0, v56, vcc
	global_load_dword v108, v[47:48], off offset:600
	global_load_dword v109, v[47:48], off offset:1200
	;; [unrolled: 1-line block ×6, first 2 shown]
	s_movk_i32 s2, 0x2000
	v_add_co_u32_e32 v51, vcc, s2, v24
	v_addc_co_u32_e32 v52, vcc, 0, v56, vcc
	global_load_dword v114, v[51:52], off offset:2608
	global_load_dword v115, v[51:52], off offset:3208
	global_load_dword v116, v[51:52], off offset:3808
	v_add_co_u32_e32 v53, vcc, 0x3000, v24
	v_addc_co_u32_e32 v54, vcc, 0, v56, vcc
	global_load_dword v117, v[53:54], off offset:312
	ds_read2_b32 v[51:52], v57 offset1:150
	s_waitcnt lgkmcnt(0)
	v_lshrrev_b32_e32 v53, 16, v51
	s_waitcnt vmcnt(10)
	v_mul_f16_sdwa v54, v53, v55 dst_sel:DWORD dst_unused:UNUSED_PAD src0_sel:DWORD src1_sel:WORD_1
	v_fma_f16 v54, v51, v55, -v54
	v_mul_f16_sdwa v51, v51, v55 dst_sel:DWORD dst_unused:UNUSED_PAD src0_sel:DWORD src1_sel:WORD_1
	v_fma_f16 v51, v53, v55, v51
	v_lshrrev_b32_e32 v53, 16, v52
	v_pack_b32_f16 v51, v54, v51
	s_waitcnt vmcnt(9)
	v_mul_f16_sdwa v54, v53, v108 dst_sel:DWORD dst_unused:UNUSED_PAD src0_sel:DWORD src1_sel:WORD_1
	v_fma_f16 v54, v52, v108, -v54
	v_mul_f16_sdwa v52, v52, v108 dst_sel:DWORD dst_unused:UNUSED_PAD src0_sel:DWORD src1_sel:WORD_1
	v_fma_f16 v52, v53, v108, v52
	v_pack_b32_f16 v52, v54, v52
	ds_write2_b32 v57, v51, v52 offset1:150
	v_add_u32_e32 v51, 0x400, v57
	ds_read2_b32 v[52:53], v51 offset0:44 offset1:194
	s_waitcnt lgkmcnt(0)
	v_lshrrev_b32_e32 v54, 16, v52
	s_waitcnt vmcnt(8)
	v_mul_f16_sdwa v55, v54, v109 dst_sel:DWORD dst_unused:UNUSED_PAD src0_sel:DWORD src1_sel:WORD_1
	v_fma_f16 v55, v52, v109, -v55
	v_mul_f16_sdwa v52, v52, v109 dst_sel:DWORD dst_unused:UNUSED_PAD src0_sel:DWORD src1_sel:WORD_1
	v_fma_f16 v52, v54, v109, v52
	v_lshrrev_b32_e32 v108, 16, v53
	v_pack_b32_f16 v54, v55, v52
	s_waitcnt vmcnt(7)
	v_mul_f16_sdwa v52, v108, v110 dst_sel:DWORD dst_unused:UNUSED_PAD src0_sel:DWORD src1_sel:WORD_1
	v_fma_f16 v109, v53, v110, -v52
	v_add_u32_e32 v52, 0x800, v57
	ds_read2_b32 v[55:56], v52 offset0:88 offset1:238
	v_mul_f16_sdwa v53, v53, v110 dst_sel:DWORD dst_unused:UNUSED_PAD src0_sel:DWORD src1_sel:WORD_1
	v_fma_f16 v53, v108, v110, v53
	v_pack_b32_f16 v53, v109, v53
	ds_write2_b32 v51, v54, v53 offset0:44 offset1:194
	s_waitcnt lgkmcnt(1)
	v_lshrrev_b32_e32 v53, 16, v55
	s_waitcnt vmcnt(6)
	v_mul_f16_sdwa v54, v53, v111 dst_sel:DWORD dst_unused:UNUSED_PAD src0_sel:DWORD src1_sel:WORD_1
	v_fma_f16 v54, v55, v111, -v54
	v_mul_f16_sdwa v55, v55, v111 dst_sel:DWORD dst_unused:UNUSED_PAD src0_sel:DWORD src1_sel:WORD_1
	v_fma_f16 v53, v53, v111, v55
	v_lshrrev_b32_e32 v109, 16, v56
	v_pack_b32_f16 v108, v54, v53
	s_waitcnt vmcnt(5)
	v_mul_f16_sdwa v53, v109, v112 dst_sel:DWORD dst_unused:UNUSED_PAD src0_sel:DWORD src1_sel:WORD_1
	v_add_u32_e32 v55, 0xe00, v57
	v_fma_f16 v110, v56, v112, -v53
	ds_read2_b32 v[53:54], v55 offset0:4 offset1:154
	v_mul_f16_sdwa v56, v56, v112 dst_sel:DWORD dst_unused:UNUSED_PAD src0_sel:DWORD src1_sel:WORD_1
	v_fma_f16 v56, v109, v112, v56
	v_pack_b32_f16 v56, v110, v56
	ds_write2_b32 v52, v108, v56 offset0:88 offset1:238
	s_waitcnt lgkmcnt(1)
	v_lshrrev_b32_e32 v56, 16, v53
	s_waitcnt vmcnt(4)
	v_mul_f16_sdwa v108, v56, v113 dst_sel:DWORD dst_unused:UNUSED_PAD src0_sel:DWORD src1_sel:WORD_1
	v_fma_f16 v108, v53, v113, -v108
	v_mul_f16_sdwa v53, v53, v113 dst_sel:DWORD dst_unused:UNUSED_PAD src0_sel:DWORD src1_sel:WORD_1
	v_lshrrev_b32_e32 v110, 16, v54
	v_fma_f16 v53, v56, v113, v53
	s_waitcnt vmcnt(3)
	v_mul_f16_sdwa v56, v110, v114 dst_sel:DWORD dst_unused:UNUSED_PAD src0_sel:DWORD src1_sel:WORD_1
	v_fma_f16 v111, v54, v114, -v56
	v_add_u32_e32 v56, 0x1200, v57
	v_pack_b32_f16 v53, v108, v53
	ds_read2_b32 v[108:109], v56 offset0:48 offset1:198
	v_mul_f16_sdwa v54, v54, v114 dst_sel:DWORD dst_unused:UNUSED_PAD src0_sel:DWORD src1_sel:WORD_1
	v_fma_f16 v54, v110, v114, v54
	v_pack_b32_f16 v54, v111, v54
	ds_write2_b32 v55, v53, v54 offset0:4 offset1:154
	s_waitcnt lgkmcnt(1)
	v_lshrrev_b32_e32 v53, 16, v108
	s_waitcnt vmcnt(2)
	v_mul_f16_sdwa v54, v53, v115 dst_sel:DWORD dst_unused:UNUSED_PAD src0_sel:DWORD src1_sel:WORD_1
	v_fma_f16 v54, v108, v115, -v54
	v_mul_f16_sdwa v108, v108, v115 dst_sel:DWORD dst_unused:UNUSED_PAD src0_sel:DWORD src1_sel:WORD_1
	v_fma_f16 v53, v53, v115, v108
	v_pack_b32_f16 v53, v54, v53
	v_lshrrev_b32_e32 v54, 16, v109
	ds_read_b32 v110, v57 offset:6000
	s_waitcnt vmcnt(1)
	v_mul_f16_sdwa v108, v54, v116 dst_sel:DWORD dst_unused:UNUSED_PAD src0_sel:DWORD src1_sel:WORD_1
	v_fma_f16 v108, v109, v116, -v108
	v_mul_f16_sdwa v109, v109, v116 dst_sel:DWORD dst_unused:UNUSED_PAD src0_sel:DWORD src1_sel:WORD_1
	v_fma_f16 v54, v54, v116, v109
	v_pack_b32_f16 v54, v108, v54
	ds_write2_b32 v56, v53, v54 offset0:48 offset1:198
	s_waitcnt lgkmcnt(1)
	v_lshrrev_b32_e32 v53, 16, v110
	s_waitcnt vmcnt(0)
	v_mul_f16_sdwa v54, v53, v117 dst_sel:DWORD dst_unused:UNUSED_PAD src0_sel:DWORD src1_sel:WORD_1
	v_mul_f16_sdwa v108, v110, v117 dst_sel:DWORD dst_unused:UNUSED_PAD src0_sel:DWORD src1_sel:WORD_1
	v_fma_f16 v54, v110, v117, -v54
	v_fma_f16 v53, v53, v117, v108
	v_pack_b32_f16 v53, v54, v53
	ds_write_b32 v57, v53 offset:6000
	s_and_saveexec_b64 s[2:3], s[0:1]
	s_cbranch_execz .LBB0_13
; %bb.12:
	global_load_dword v53, v[47:48], off offset:440
	global_load_dword v54, v[47:48], off offset:1040
	;; [unrolled: 1-line block ×7, first 2 shown]
	v_add_co_u32_e32 v47, vcc, s6, v47
	v_addc_co_u32_e32 v48, vcc, 0, v48, vcc
	global_load_dword v117, v[47:48], off offset:544
	global_load_dword v118, v[47:48], off offset:1144
	;; [unrolled: 1-line block ×4, first 2 shown]
	v_add_u32_e32 v108, 0x100, v57
	ds_read2_b32 v[47:48], v108 offset0:46 offset1:196
	v_add_u32_e32 v121, 0xf00, v57
	s_waitcnt lgkmcnt(0)
	v_lshrrev_b32_e32 v109, 16, v47
	v_lshrrev_b32_e32 v110, 16, v48
	s_waitcnt vmcnt(10)
	v_mul_f16_sdwa v111, v109, v53 dst_sel:DWORD dst_unused:UNUSED_PAD src0_sel:DWORD src1_sel:WORD_1
	v_mul_f16_sdwa v122, v47, v53 dst_sel:DWORD dst_unused:UNUSED_PAD src0_sel:DWORD src1_sel:WORD_1
	s_waitcnt vmcnt(9)
	v_mul_f16_sdwa v123, v110, v54 dst_sel:DWORD dst_unused:UNUSED_PAD src0_sel:DWORD src1_sel:WORD_1
	v_mul_f16_sdwa v124, v48, v54 dst_sel:DWORD dst_unused:UNUSED_PAD src0_sel:DWORD src1_sel:WORD_1
	v_fma_f16 v47, v47, v53, -v111
	v_fma_f16 v53, v109, v53, v122
	v_fma_f16 v48, v48, v54, -v123
	v_fma_f16 v54, v110, v54, v124
	v_pack_b32_f16 v47, v47, v53
	v_pack_b32_f16 v48, v48, v54
	ds_write2_b32 v108, v47, v48 offset0:46 offset1:196
	ds_read2_b32 v[47:48], v29 offset0:26 offset1:176
	ds_read2_b32 v[53:54], v49 offset0:70 offset1:220
	;; [unrolled: 1-line block ×4, first 2 shown]
	ds_read_b32 v122, v57 offset:6440
	s_waitcnt lgkmcnt(4)
	v_lshrrev_b32_e32 v123, 16, v47
	s_waitcnt vmcnt(8)
	v_mul_f16_sdwa v124, v47, v112 dst_sel:DWORD dst_unused:UNUSED_PAD src0_sel:DWORD src1_sel:WORD_1
	v_lshrrev_b32_e32 v125, 16, v48
	s_waitcnt vmcnt(7)
	v_mul_f16_sdwa v126, v48, v113 dst_sel:DWORD dst_unused:UNUSED_PAD src0_sel:DWORD src1_sel:WORD_1
	s_waitcnt lgkmcnt(3)
	v_lshrrev_b32_e32 v127, 16, v53
	s_waitcnt vmcnt(6)
	v_mul_f16_sdwa v128, v53, v114 dst_sel:DWORD dst_unused:UNUSED_PAD src0_sel:DWORD src1_sel:WORD_1
	v_lshrrev_b32_e32 v129, 16, v54
	s_waitcnt vmcnt(5)
	v_mul_f16_sdwa v130, v54, v115 dst_sel:DWORD dst_unused:UNUSED_PAD src0_sel:DWORD src1_sel:WORD_1
	;; [unrolled: 7-line block ×4, first 2 shown]
	s_waitcnt lgkmcnt(0)
	v_lshrrev_b32_e32 v139, 16, v122
	v_mul_f16_sdwa v141, v123, v112 dst_sel:DWORD dst_unused:UNUSED_PAD src0_sel:DWORD src1_sel:WORD_1
	v_fma_f16 v123, v123, v112, v124
	v_mul_f16_sdwa v124, v125, v113 dst_sel:DWORD dst_unused:UNUSED_PAD src0_sel:DWORD src1_sel:WORD_1
	s_waitcnt vmcnt(0)
	v_mul_f16_sdwa v140, v122, v120 dst_sel:DWORD dst_unused:UNUSED_PAD src0_sel:DWORD src1_sel:WORD_1
	v_fma_f16 v125, v125, v113, v126
	v_mul_f16_sdwa v126, v127, v114 dst_sel:DWORD dst_unused:UNUSED_PAD src0_sel:DWORD src1_sel:WORD_1
	v_fma_f16 v127, v127, v114, v128
	;; [unrolled: 2-line block ×7, first 2 shown]
	v_mul_f16_sdwa v138, v139, v120 dst_sel:DWORD dst_unused:UNUSED_PAD src0_sel:DWORD src1_sel:WORD_1
	v_fma_f16 v47, v47, v112, -v141
	v_fma_f16 v48, v48, v113, -v124
	v_fma_f16 v139, v139, v120, v140
	v_fma_f16 v53, v53, v114, -v126
	v_fma_f16 v54, v54, v115, -v128
	;; [unrolled: 1-line block ×7, first 2 shown]
	v_pack_b32_f16 v47, v47, v123
	v_pack_b32_f16 v48, v48, v125
	;; [unrolled: 1-line block ×9, first 2 shown]
	ds_write2_b32 v29, v47, v48 offset0:26 offset1:176
	ds_write2_b32 v49, v53, v54 offset0:70 offset1:220
	;; [unrolled: 1-line block ×4, first 2 shown]
	ds_write_b32 v57, v112 offset:6440
.LBB0_13:
	s_or_b64 exec, exec, s[2:3]
	s_waitcnt lgkmcnt(0)
	s_barrier
	ds_read2_b32 v[47:48], v57 offset1:150
	ds_read2_b32 v[53:54], v51 offset0:44 offset1:194
	ds_read2_b32 v[49:50], v52 offset0:88 offset1:238
	;; [unrolled: 1-line block ×4, first 2 shown]
	ds_read_b32 v152, v57 offset:6000
	v_lshrrev_b32_e32 v29, 16, v79
	s_and_saveexec_b64 s[2:3], s[0:1]
	s_cbranch_execz .LBB0_15
; %bb.14:
	v_add_u32_e32 v27, 0x100, v57
	ds_read2_b32 v[43:44], v27 offset0:46 offset1:196
	v_add_u32_e32 v27, 0x600, v57
	ds_read2_b32 v[45:46], v27 offset0:26 offset1:176
	;; [unrolled: 2-line block ×5, first 2 shown]
	ds_read_b32 v73, v57 offset:6440
	s_mov_b32 s6, 0xffff
	s_waitcnt lgkmcnt(5)
	v_lshrrev_b32_e32 v104, 16, v43
	v_lshrrev_b32_e32 v106, 16, v44
	s_waitcnt lgkmcnt(4)
	v_lshrrev_b32_e32 v107, 16, v45
	v_lshrrev_b32_e32 v105, 16, v46
	;; [unrolled: 3-line block ×5, first 2 shown]
	s_waitcnt lgkmcnt(0)
	v_bfi_b32 v42, s6, v42, v73
.LBB0_15:
	s_or_b64 exec, exec, s[2:3]
	v_sub_f16_sdwa v139, v106, v42 dst_sel:DWORD dst_unused:UNUSED_PAD src0_sel:DWORD src1_sel:WORD_1
	v_add_f16_e32 v112, v73, v44
	v_sub_f16_e32 v113, v44, v73
	s_mov_b32 s6, 0xb08e
	v_mul_f16_e32 v117, 0xbbeb, v139
	v_sub_f16_e32 v143, v107, v72
	v_add_f16_sdwa v142, v42, v106 dst_sel:DWORD dst_unused:UNUSED_PAD src0_sel:WORD_1 src1_sel:DWORD
	v_fma_f16 v108, v112, s6, v117
	v_mul_f16_e32 v120, 0xbbeb, v113
	v_add_f16_e32 v114, v28, v45
	v_sub_f16_e32 v115, v45, v28
	s_mov_b32 s13, 0xbbad
	v_mul_f16_e32 v121, 0x3482, v143
	v_add_f16_e32 v108, v43, v108
	v_fma_f16 v109, v142, s6, -v120
	s_mov_b32 s7, 0xb93d
	v_mul_f16_e32 v124, 0xba0c, v139
	v_add_f16_e32 v145, v72, v107
	v_fma_f16 v116, v114, s13, v121
	v_mul_f16_e32 v125, 0x3482, v115
	v_add_f16_e32 v109, v104, v109
	v_fma_f16 v110, v112, s7, v124
	v_mul_f16_e32 v128, 0xba0c, v113
	v_add_f16_e32 v108, v116, v108
	v_fma_f16 v116, v145, s13, -v125
	v_mul_f16_e32 v129, 0x3beb, v143
	v_add_f16_e32 v110, v43, v110
	v_fma_f16 v111, v142, s7, -v128
	v_add_f16_e32 v109, v116, v109
	v_fma_f16 v116, v114, s6, v129
	v_mul_f16_e32 v132, 0x3beb, v115
	v_add_f16_e32 v111, v104, v111
	v_add_f16_e32 v110, v116, v110
	v_fma_f16 v116, v145, s6, -v132
	v_sub_f16_e32 v146, v105, v74
	v_add_f16_e32 v111, v116, v111
	v_add_f16_e32 v116, v27, v46
	v_sub_f16_e32 v118, v46, v27
	s_movk_i32 s17, 0x36a6
	v_mul_f16_e32 v127, 0x3b47, v146
	v_add_f16_e32 v147, v74, v105
	v_fma_f16 v119, v116, s17, v127
	v_mul_f16_e32 v130, 0x3b47, v118
	v_add_f16_e32 v108, v119, v108
	v_fma_f16 v119, v147, s17, -v130
	s_movk_i32 s19, 0x3abb
	v_mul_f16_e32 v133, 0xb853, v146
	v_add_f16_e32 v109, v119, v109
	v_fma_f16 v119, v116, s19, v133
	v_mul_f16_e32 v136, 0xb853, v118
	v_add_f16_e32 v110, v119, v110
	v_fma_f16 v119, v147, s19, -v136
	v_sub_f16_e32 v148, v103, v76
	v_add_f16_e32 v111, v119, v111
	v_add_f16_e32 v119, v30, v41
	v_sub_f16_e32 v122, v41, v30
	v_mul_f16_e32 v131, 0xb853, v148
	v_add_f16_e32 v149, v76, v103
	v_fma_f16 v123, v119, s19, v131
	v_mul_f16_e32 v134, 0xb853, v122
	v_add_f16_e32 v108, v123, v108
	v_fma_f16 v123, v149, s19, -v134
	v_mul_f16_e32 v137, 0xb482, v148
	v_add_f16_e32 v109, v123, v109
	v_fma_f16 v123, v119, s13, v137
	v_mul_f16_e32 v140, 0xb482, v122
	v_add_f16_e32 v110, v123, v110
	v_fma_f16 v123, v149, s13, -v140
	v_sub_f16_e32 v150, v79, v80
	s_waitcnt lgkmcnt(5)
	v_pk_add_f16 v153, v47, v48
	v_add_f16_e32 v111, v123, v111
	v_add_f16_e32 v123, v29, v42
	v_mul_f16_e32 v135, 0xba0c, v150
	v_sub_f16_e32 v126, v42, v29
	v_fma_f16 v138, v123, s7, v135
	s_waitcnt lgkmcnt(4)
	v_pk_add_f16 v153, v153, v53
	v_add_f16_e32 v151, v80, v79
	v_add_f16_e32 v108, v138, v108
	v_mul_f16_e32 v138, 0xba0c, v126
	v_pk_add_f16 v153, v153, v54
	v_fma_f16 v141, v151, s7, -v138
	s_waitcnt lgkmcnt(3)
	v_pk_add_f16 v153, v153, v49
	v_add_f16_e32 v109, v141, v109
	v_mul_f16_e32 v141, 0x3b47, v150
	v_pk_add_f16 v153, v153, v50
	v_fma_f16 v144, v123, s17, v141
	s_waitcnt lgkmcnt(2)
	v_pk_add_f16 v153, v153, v51
	v_add_f16_e32 v110, v144, v110
	v_mul_f16_e32 v144, 0x3b47, v126
	v_pk_add_f16 v153, v153, v52
	v_fma_f16 v154, v151, s17, -v144
	s_waitcnt lgkmcnt(1)
	v_pk_add_f16 v153, v153, v55
	s_mov_b32 s21, 0xb853
	v_add_f16_e32 v111, v154, v111
	v_pk_add_f16 v153, v153, v56
	s_waitcnt lgkmcnt(0)
	v_pk_add_f16 v154, v152, v48
	v_pk_add_f16 v48, v48, v152 neg_lo:[0,1] neg_hi:[0,1]
	v_pk_add_f16 v153, v153, v152
	v_pk_mul_f16 v152, v48, s21 op_sel_hi:[1,0]
	s_mov_b32 s23, 0xbb47
	v_pk_add_f16 v169, v56, v53
	v_pk_add_f16 v53, v53, v56 neg_lo:[0,1] neg_hi:[0,1]
	v_pk_fma_f16 v155, v154, s19, v152 op_sel:[0,0,1] op_sel_hi:[1,0,0]
	v_pk_fma_f16 v152, v154, s19, v152 op_sel:[0,0,1] op_sel_hi:[1,0,0] neg_lo:[0,0,1] neg_hi:[0,0,1]
	s_mov_b32 s2, 0xffff
	v_pk_mul_f16 v56, v53, s23 op_sel_hi:[1,0]
	v_bfi_b32 v156, s2, v155, v152
	v_pk_fma_f16 v170, v169, s17, v56 op_sel:[0,0,1] op_sel_hi:[1,0,0]
	v_pk_fma_f16 v56, v169, s17, v56 op_sel:[0,0,1] op_sel_hi:[1,0,0] neg_lo:[0,0,1] neg_hi:[0,0,1]
	s_mov_b32 s16, 0xba0c
	v_pk_add_f16 v156, v47, v156
	v_mul_f16_sdwa v157, v48, s23 dst_sel:DWORD dst_unused:UNUSED_PAD src0_sel:WORD_1 src1_sel:DWORD
	v_bfi_b32 v171, s2, v170, v56
	v_fma_f16 v158, v154, s17, v157
	v_pk_add_f16 v156, v171, v156
	v_mul_f16_sdwa v171, v53, s16 dst_sel:DWORD dst_unused:UNUSED_PAD src0_sel:WORD_1 src1_sel:DWORD
	s_movk_i32 s24, 0x3b47
	v_add_f16_e32 v158, v47, v158
	v_mul_f16_sdwa v159, v154, s17 dst_sel:DWORD dst_unused:UNUSED_PAD src0_sel:WORD_1 src1_sel:DWORD
	v_fma_f16 v157, v154, s17, -v157
	v_fma_f16 v172, v169, s7, v171
	s_mov_b32 s12, 0xbbeb
	v_fma_f16 v160, v48, s24, v159
	v_add_f16_e32 v157, v47, v157
	v_fma_f16 v159, v48, s23, v159
	v_add_f16_e32 v158, v172, v158
	v_mul_f16_sdwa v172, v169, s7 dst_sel:DWORD dst_unused:UNUSED_PAD src0_sel:WORD_1 src1_sel:DWORD
	v_fma_f16 v171, v169, s7, -v171
	s_movk_i32 s18, 0x3482
	v_add_f16_sdwa v159, v47, v159 dst_sel:DWORD dst_unused:UNUSED_PAD src0_sel:WORD_1 src1_sel:DWORD
	v_mul_f16_sdwa v161, v48, s12 dst_sel:DWORD dst_unused:UNUSED_PAD src0_sel:WORD_1 src1_sel:DWORD
	v_add_f16_e32 v157, v171, v157
	v_fma_f16 v171, v53, s16, v172
	v_fma_f16 v162, v154, s6, v161
	s_movk_i32 s26, 0x3a0c
	v_add_f16_e32 v159, v171, v159
	v_mul_f16_sdwa v171, v53, s18 dst_sel:DWORD dst_unused:UNUSED_PAD src0_sel:WORD_1 src1_sel:DWORD
	s_movk_i32 s20, 0x3beb
	v_add_f16_e32 v162, v47, v162
	v_mul_f16_sdwa v163, v154, s6 dst_sel:DWORD dst_unused:UNUSED_PAD src0_sel:WORD_1 src1_sel:DWORD
	v_fma_f16 v161, v154, s6, -v161
	v_fma_f16 v173, v53, s26, v172
	v_fma_f16 v172, v169, s13, v171
	;; [unrolled: 1-line block ×3, first 2 shown]
	v_add_f16_e32 v161, v47, v161
	v_fma_f16 v163, v48, s12, v163
	v_add_f16_e32 v162, v172, v162
	v_mul_f16_sdwa v172, v169, s13 dst_sel:DWORD dst_unused:UNUSED_PAD src0_sel:WORD_1 src1_sel:DWORD
	v_fma_f16 v171, v169, s13, -v171
	v_add_f16_sdwa v163, v47, v163 dst_sel:DWORD dst_unused:UNUSED_PAD src0_sel:WORD_1 src1_sel:DWORD
	v_mul_f16_sdwa v165, v48, s16 dst_sel:DWORD dst_unused:UNUSED_PAD src0_sel:WORD_1 src1_sel:DWORD
	v_add_f16_e32 v161, v171, v161
	v_fma_f16 v171, v53, s18, v172
	s_mov_b32 s22, 0xb482
	v_add_f16_sdwa v160, v47, v160 dst_sel:DWORD dst_unused:UNUSED_PAD src0_sel:WORD_1 src1_sel:DWORD
	v_fma_f16 v166, v154, s7, v165
	v_add_f16_e32 v163, v171, v163
	v_mul_f16_sdwa v171, v53, s20 dst_sel:DWORD dst_unused:UNUSED_PAD src0_sel:WORD_1 src1_sel:DWORD
	v_add_f16_e32 v166, v47, v166
	v_mul_f16_sdwa v167, v154, s7 dst_sel:DWORD dst_unused:UNUSED_PAD src0_sel:WORD_1 src1_sel:DWORD
	v_fma_f16 v165, v154, s7, -v165
	v_add_f16_e32 v160, v173, v160
	v_fma_f16 v173, v53, s22, v172
	v_fma_f16 v172, v169, s6, v171
	;; [unrolled: 1-line block ×3, first 2 shown]
	v_add_f16_e32 v165, v47, v165
	v_fma_f16 v167, v48, s16, v167
	v_add_f16_e32 v166, v172, v166
	v_mul_f16_sdwa v172, v169, s6 dst_sel:DWORD dst_unused:UNUSED_PAD src0_sel:WORD_1 src1_sel:DWORD
	v_fma_f16 v171, v169, s6, -v171
	v_add_f16_sdwa v167, v47, v167 dst_sel:DWORD dst_unused:UNUSED_PAD src0_sel:WORD_1 src1_sel:DWORD
	v_add_f16_e32 v165, v171, v165
	v_fma_f16 v171, v53, s20, v172
	v_add_f16_e32 v167, v171, v167
	v_pk_add_f16 v171, v55, v54
	v_pk_add_f16 v54, v54, v55 neg_lo:[0,1] neg_hi:[0,1]
	v_add_f16_sdwa v164, v47, v164 dst_sel:DWORD dst_unused:UNUSED_PAD src0_sel:WORD_1 src1_sel:DWORD
	v_pk_mul_f16 v55, v54, s12 op_sel_hi:[1,0]
	v_add_f16_sdwa v168, v47, v168 dst_sel:DWORD dst_unused:UNUSED_PAD src0_sel:WORD_1 src1_sel:DWORD
	v_add_f16_e32 v164, v173, v164
	v_fma_f16 v173, v53, s12, v172
	v_pk_fma_f16 v172, v171, s6, v55 op_sel:[0,0,1] op_sel_hi:[1,0,0]
	v_pk_fma_f16 v55, v171, s6, v55 op_sel:[0,0,1] op_sel_hi:[1,0,0] neg_lo:[0,0,1] neg_hi:[0,0,1]
	v_add_f16_e32 v168, v173, v168
	v_bfi_b32 v173, s2, v172, v55
	v_pk_add_f16 v156, v173, v156
	v_mul_f16_sdwa v173, v54, s18 dst_sel:DWORD dst_unused:UNUSED_PAD src0_sel:WORD_1 src1_sel:DWORD
	v_fma_f16 v174, v171, s13, v173
	v_add_f16_e32 v158, v174, v158
	v_mul_f16_sdwa v174, v171, s13 dst_sel:DWORD dst_unused:UNUSED_PAD src0_sel:WORD_1 src1_sel:DWORD
	v_fma_f16 v173, v171, s13, -v173
	v_add_f16_e32 v157, v173, v157
	v_fma_f16 v173, v54, s18, v174
	v_add_f16_e32 v159, v173, v159
	v_mul_f16_sdwa v173, v54, s24 dst_sel:DWORD dst_unused:UNUSED_PAD src0_sel:WORD_1 src1_sel:DWORD
	v_fma_f16 v175, v54, s22, v174
	v_fma_f16 v174, v171, s17, v173
	v_add_f16_e32 v162, v174, v162
	v_mul_f16_sdwa v174, v171, s17 dst_sel:DWORD dst_unused:UNUSED_PAD src0_sel:WORD_1 src1_sel:DWORD
	v_fma_f16 v173, v171, s17, -v173
	v_add_f16_e32 v161, v173, v161
	v_fma_f16 v173, v54, s24, v174
	v_add_f16_e32 v163, v173, v163
	v_mul_f16_sdwa v173, v54, s21 dst_sel:DWORD dst_unused:UNUSED_PAD src0_sel:WORD_1 src1_sel:DWORD
	v_add_f16_e32 v160, v175, v160
	v_fma_f16 v175, v54, s23, v174
	v_fma_f16 v174, v171, s19, v173
	v_add_f16_e32 v166, v174, v166
	v_mul_f16_sdwa v174, v171, s19 dst_sel:DWORD dst_unused:UNUSED_PAD src0_sel:WORD_1 src1_sel:DWORD
	v_fma_f16 v173, v171, s19, -v173
	v_add_f16_e32 v165, v173, v165
	v_fma_f16 v173, v54, s21, v174
	v_add_f16_e32 v167, v173, v167
	v_pk_add_f16 v173, v52, v49
	v_pk_add_f16 v49, v49, v52 neg_lo:[0,1] neg_hi:[0,1]
	s_movk_i32 s25, 0x3853
	v_pk_mul_f16 v52, v49, s16 op_sel_hi:[1,0]
	v_add_f16_e32 v164, v175, v164
	v_fma_f16 v175, v54, s25, v174
	v_pk_fma_f16 v174, v173, s7, v52 op_sel:[0,0,1] op_sel_hi:[1,0,0]
	v_pk_fma_f16 v52, v173, s7, v52 op_sel:[0,0,1] op_sel_hi:[1,0,0] neg_lo:[0,0,1] neg_hi:[0,0,1]
	v_add_f16_e32 v168, v175, v168
	v_bfi_b32 v175, s2, v174, v52
	v_pk_add_f16 v156, v175, v156
	v_mul_f16_sdwa v175, v49, s20 dst_sel:DWORD dst_unused:UNUSED_PAD src0_sel:WORD_1 src1_sel:DWORD
	v_fma_f16 v176, v173, s6, v175
	v_add_f16_e32 v158, v176, v158
	v_mul_f16_sdwa v176, v173, s6 dst_sel:DWORD dst_unused:UNUSED_PAD src0_sel:WORD_1 src1_sel:DWORD
	v_fma_f16 v175, v173, s6, -v175
	v_add_f16_e32 v157, v175, v157
	v_fma_f16 v175, v49, s20, v176
	v_add_f16_e32 v159, v175, v159
	v_mul_f16_sdwa v175, v49, s21 dst_sel:DWORD dst_unused:UNUSED_PAD src0_sel:WORD_1 src1_sel:DWORD
	v_fma_f16 v177, v49, s12, v176
	v_fma_f16 v176, v173, s19, v175
	v_add_f16_e32 v162, v176, v162
	v_mul_f16_sdwa v176, v173, s19 dst_sel:DWORD dst_unused:UNUSED_PAD src0_sel:WORD_1 src1_sel:DWORD
	v_fma_f16 v175, v173, s19, -v175
	v_add_f16_e32 v161, v175, v161
	v_fma_f16 v175, v49, s21, v176
	v_add_f16_e32 v163, v175, v163
	v_mul_f16_sdwa v175, v49, s22 dst_sel:DWORD dst_unused:UNUSED_PAD src0_sel:WORD_1 src1_sel:DWORD
	v_add_f16_e32 v160, v177, v160
	v_fma_f16 v177, v49, s25, v176
	v_fma_f16 v176, v173, s13, v175
	v_add_f16_e32 v166, v176, v166
	v_mul_f16_sdwa v176, v173, s13 dst_sel:DWORD dst_unused:UNUSED_PAD src0_sel:WORD_1 src1_sel:DWORD
	v_fma_f16 v175, v173, s13, -v175
	v_add_f16_e32 v165, v175, v165
	v_fma_f16 v175, v49, s22, v176
	v_add_f16_e32 v167, v175, v167
	v_pk_add_f16 v175, v51, v50
	v_pk_add_f16 v50, v50, v51 neg_lo:[0,1] neg_hi:[0,1]
	v_pk_mul_f16 v51, v50, s22 op_sel_hi:[1,0]
	v_add_f16_e32 v164, v177, v164
	v_fma_f16 v177, v49, s18, v176
	v_pk_fma_f16 v176, v175, s13, v51 op_sel:[0,0,1] op_sel_hi:[1,0,0]
	v_pk_fma_f16 v51, v175, s13, v51 op_sel:[0,0,1] op_sel_hi:[1,0,0] neg_lo:[0,0,1] neg_hi:[0,0,1]
	v_add_f16_e32 v168, v177, v168
	v_bfi_b32 v177, s2, v176, v51
	v_pk_add_f16 v156, v177, v156
	v_mul_f16_sdwa v177, v50, s25 dst_sel:DWORD dst_unused:UNUSED_PAD src0_sel:WORD_1 src1_sel:DWORD
	v_fma_f16 v178, v175, s19, v177
	v_add_f16_e32 v158, v178, v158
	v_mul_f16_sdwa v178, v175, s19 dst_sel:DWORD dst_unused:UNUSED_PAD src0_sel:WORD_1 src1_sel:DWORD
	v_fma_f16 v177, v175, s19, -v177
	v_add_f16_e32 v157, v177, v157
	v_fma_f16 v177, v50, s25, v178
	v_add_f16_e32 v159, v177, v159
	v_mul_f16_sdwa v177, v50, s16 dst_sel:DWORD dst_unused:UNUSED_PAD src0_sel:WORD_1 src1_sel:DWORD
	v_fma_f16 v179, v50, s21, v178
	v_fma_f16 v178, v175, s7, v177
	v_add_f16_e32 v162, v178, v162
	v_mul_f16_sdwa v178, v175, s7 dst_sel:DWORD dst_unused:UNUSED_PAD src0_sel:WORD_1 src1_sel:DWORD
	v_fma_f16 v177, v175, s7, -v177
	v_add_f16_e32 v161, v177, v161
	v_fma_f16 v177, v50, s16, v178
	v_add_f16_e32 v163, v177, v163
	v_mul_f16_sdwa v177, v50, s24 dst_sel:DWORD dst_unused:UNUSED_PAD src0_sel:WORD_1 src1_sel:DWORD
	v_add_f16_e32 v160, v179, v160
	v_fma_f16 v179, v50, s26, v178
	v_fma_f16 v178, v175, s17, v177
	v_add_f16_e32 v166, v178, v166
	v_mul_f16_sdwa v178, v175, s17 dst_sel:DWORD dst_unused:UNUSED_PAD src0_sel:WORD_1 src1_sel:DWORD
	v_add_f16_e32 v164, v179, v164
	v_fma_f16 v179, v50, s23, v178
	s_barrier
	v_add_f16_e32 v168, v179, v168
	ds_write2_b32 v70, v153, v156 offset1:1
	v_pack_b32_f16 v153, v162, v164
	v_pack_b32_f16 v156, v158, v160
	ds_write2_b32 v70, v156, v153 offset0:2 offset1:3
	v_pack_b32_f16 v153, v166, v168
	ds_write_b32 v70, v153 offset:16
	v_pk_mul_f16 v153, v154, s13 op_sel_hi:[1,0]
	v_pk_fma_f16 v154, v48, s22, v153 op_sel:[0,0,1] op_sel_hi:[1,0,0]
	v_pk_fma_f16 v48, v48, s22, v153 op_sel:[0,0,1] op_sel_hi:[1,0,0] neg_lo:[1,0,0] neg_hi:[1,0,0]
	v_alignbit_b32 v153, s0, v47, 16
	v_alignbit_b32 v156, s0, v154, 16
	v_pk_add_f16 v153, v153, v154
	v_pk_mul_f16 v154, v169, s19 op_sel_hi:[1,0]
	v_pk_add_f16 v48, v47, v48 op_sel:[1,0] op_sel_hi:[0,1]
	v_pk_fma_f16 v158, v53, s25, v154 op_sel:[0,0,1] op_sel_hi:[1,0,0]
	v_pk_fma_f16 v53, v53, s25, v154 op_sel:[0,0,1] op_sel_hi:[1,0,0] neg_lo:[1,0,0] neg_hi:[1,0,0]
	v_pk_add_f16 v48, v53, v48
	v_pk_add_f16 v53, v158, v153
	v_pk_mul_f16 v153, v171, s7 op_sel_hi:[1,0]
	v_pk_fma_f16 v154, v54, s16, v153 op_sel:[0,0,1] op_sel_hi:[1,0,0]
	v_pk_fma_f16 v54, v54, s16, v153 op_sel:[0,0,1] op_sel_hi:[1,0,0] neg_lo:[1,0,0] neg_hi:[1,0,0]
	v_pk_add_f16 v48, v54, v48
	v_pk_mul_f16 v54, v173, s17 op_sel_hi:[1,0]
	v_pk_add_f16 v156, v47, v156
	v_alignbit_b32 v160, s0, v158, 16
	v_pk_add_f16 v53, v154, v53
	v_pk_fma_f16 v153, v49, s24, v54 op_sel:[0,0,1] op_sel_hi:[1,0,0]
	v_pk_fma_f16 v49, v49, s24, v54 op_sel:[0,0,1] op_sel_hi:[1,0,0] neg_lo:[1,0,0] neg_hi:[1,0,0]
	v_pk_add_f16 v156, v160, v156
	v_alignbit_b32 v158, s0, v154, 16
	v_pk_add_f16 v48, v49, v48
	v_pk_add_f16 v49, v153, v53
	v_pk_mul_f16 v53, v175, s6 op_sel_hi:[1,0]
	v_fma_f16 v177, v175, s17, -v177
	v_pk_add_f16 v156, v158, v156
	v_alignbit_b32 v154, s0, v153, 16
	v_pk_fma_f16 v54, v50, s12, v53 op_sel:[0,0,1] op_sel_hi:[1,0,0]
	v_add_f16_e32 v165, v177, v165
	v_fma_f16 v177, v50, s24, v178
	v_pk_add_f16 v154, v154, v156
	v_alignbit_b32 v153, s0, v54, 16
	v_pk_fma_f16 v50, v50, s12, v53 op_sel:[0,0,1] op_sel_hi:[1,0,0] neg_lo:[1,0,0] neg_hi:[1,0,0]
	v_pk_add_f16 v153, v153, v154
	v_pk_add_f16 v48, v50, v48
	;; [unrolled: 1-line block ×3, first 2 shown]
	v_add_f16_e32 v167, v177, v167
	v_alignbit_b32 v49, v49, v48, 16
	v_pack_b32_f16 v48, v153, v48
	ds_write2_b32 v70, v48, v49 offset0:5 offset1:6
	v_pack_b32_f16 v48, v161, v163
	v_pack_b32_f16 v49, v165, v167
	ds_write2_b32 v70, v49, v48 offset0:7 offset1:8
	v_bfi_b32 v48, s2, v152, v155
	v_pk_add_f16 v47, v47, v48
	v_bfi_b32 v48, s2, v56, v170
	v_pk_add_f16 v47, v48, v47
	;; [unrolled: 2-line block ×5, first 2 shown]
	v_pack_b32_f16 v48, v157, v159
	ds_write2_b32 v70, v48, v47 offset0:9 offset1:10
	s_and_saveexec_b64 s[2:3], s[0:1]
	s_cbranch_execz .LBB0_17
; %bb.16:
	v_mul_f16_e32 v161, 0xbbad, v142
	v_fma_f16 v162, v113, s18, v161
	v_mul_f16_e32 v163, 0x3abb, v145
	v_add_f16_e32 v44, v44, v43
	v_add_f16_e32 v162, v104, v162
	v_fma_f16 v164, v115, s21, v163
	v_add_f16_e32 v44, v45, v44
	v_add_f16_e32 v162, v164, v162
	v_mul_f16_e32 v164, 0xb93d, v147
	v_add_f16_e32 v44, v46, v44
	v_fma_f16 v165, v118, s26, v164
	v_add_f16_e32 v41, v41, v44
	v_add_f16_e32 v162, v165, v162
	v_mul_f16_e32 v165, 0x36a6, v149
	;; [unrolled: 5-line block ×3, first 2 shown]
	v_add_f16_e32 v29, v30, v29
	v_fma_f16 v167, v126, s20, v166
	v_add_f16_e32 v27, v27, v29
	v_fma_f16 v29, v113, s22, v161
	v_add_f16_e32 v162, v167, v162
	v_mul_f16_e32 v167, 0xb482, v139
	v_add_f16_e32 v29, v104, v29
	v_fma_f16 v30, v115, s25, v163
	v_fma_f16 v168, v112, s13, v167
	v_mul_f16_e32 v169, 0x3853, v143
	v_add_f16_e32 v27, v28, v27
	v_add_f16_e32 v28, v106, v104
	;; [unrolled: 1-line block ×3, first 2 shown]
	v_fma_f16 v30, v118, s16, v164
	v_add_f16_e32 v168, v43, v168
	v_fma_f16 v170, v114, s19, v169
	v_add_f16_e32 v28, v107, v28
	v_add_f16_e32 v29, v30, v29
	v_fma_f16 v30, v122, s24, v165
	v_add_f16_e32 v168, v170, v168
	v_mul_f16_e32 v170, 0xba0c, v146
	v_add_f16_e32 v28, v105, v28
	v_add_f16_e32 v29, v30, v29
	v_fma_f16 v30, v126, s12, v166
	v_fma_f16 v171, v116, s7, v170
	v_add_f16_e32 v28, v103, v28
	v_add_f16_e32 v29, v30, v29
	v_fma_f16 v30, v112, s13, -v167
	v_add_f16_e32 v168, v171, v168
	v_mul_f16_e32 v171, 0x3b47, v148
	v_add_f16_e32 v28, v79, v28
	v_add_f16_e32 v30, v43, v30
	v_fma_f16 v41, v114, s19, -v169
	v_fma_f16 v172, v119, s17, v171
	v_add_f16_e32 v28, v80, v28
	v_add_f16_e32 v30, v41, v30
	v_fma_f16 v41, v116, s7, -v170
	v_add_f16_e32 v168, v172, v168
	v_mul_f16_e32 v172, 0xbbeb, v150
	v_add_f16_e32 v28, v76, v28
	v_add_f16_e32 v30, v41, v30
	v_fma_f16 v41, v119, s17, -v171
	v_mul_f16_e32 v50, 0xb93d, v142
	v_add_f16_e32 v28, v74, v28
	v_add_f16_e32 v30, v41, v30
	v_fma_f16 v41, v123, s6, -v172
	v_mul_f16_e32 v54, 0xb08e, v145
	v_add_f16_e32 v28, v72, v28
	v_add_f16_e32 v30, v41, v30
	;; [unrolled: 1-line block ×3, first 2 shown]
	v_mul_f16_e32 v152, 0x3abb, v147
	v_add_f16_sdwa v28, v42, v28 dst_sel:DWORD dst_unused:UNUSED_PAD src0_sel:WORD_1 src1_sel:DWORD
	v_add_f16_e32 v41, v104, v41
	v_add_f16_e32 v42, v132, v54
	v_mul_f16_e32 v156, 0xbbad, v149
	v_add_f16_e32 v41, v42, v41
	v_add_f16_e32 v42, v136, v152
	v_mul_f16_e32 v160, 0x36a6, v151
	;; [unrolled: 3-line block ×4, first 2 shown]
	v_add_f16_e32 v41, v42, v41
	v_sub_f16_e32 v42, v49, v124
	v_mul_f16_e32 v70, 0x3abb, v116
	v_add_f16_e32 v42, v43, v42
	v_sub_f16_e32 v44, v53, v129
	v_mul_f16_e32 v155, 0xbbad, v119
	;; [unrolled: 3-line block ×5, first 2 shown]
	v_fma_f16 v173, v123, s6, v172
	v_add_f16_e32 v42, v44, v42
	v_add_f16_e32 v44, v120, v48
	v_mul_f16_e32 v56, 0x36a6, v147
	v_add_f16_e32 v168, v173, v168
	v_mul_f16_e32 v173, 0x36a6, v142
	v_add_f16_e32 v44, v104, v44
	v_add_f16_e32 v45, v125, v52
	v_mul_f16_e32 v154, 0x3abb, v149
	v_fma_f16 v174, v113, s24, v173
	v_mul_f16_e32 v175, 0xb93d, v145
	v_add_f16_e32 v44, v45, v44
	v_add_f16_e32 v45, v130, v56
	v_mul_f16_e32 v158, 0xb93d, v151
	v_add_f16_e32 v174, v104, v174
	v_fma_f16 v176, v115, s26, v175
	v_add_f16_e32 v44, v45, v44
	v_add_f16_e32 v45, v134, v154
	v_mul_f16_e32 v47, 0xb08e, v112
	v_add_f16_e32 v174, v176, v174
	v_mul_f16_e32 v176, 0xbbad, v147
	v_add_f16_e32 v44, v45, v44
	v_add_f16_e32 v45, v138, v158
	v_mul_f16_e32 v51, 0xbbad, v114
	v_fma_f16 v177, v118, s22, v176
	v_add_f16_e32 v44, v45, v44
	v_sub_f16_e32 v45, v47, v117
	v_mul_f16_e32 v55, 0x36a6, v116
	v_add_f16_e32 v174, v177, v174
	v_mul_f16_e32 v177, 0xb08e, v149
	v_add_f16_e32 v45, v43, v45
	v_sub_f16_e32 v46, v51, v121
	v_mul_f16_e32 v153, 0x3abb, v119
	v_fma_f16 v178, v122, s12, v177
	v_add_f16_e32 v45, v46, v45
	v_sub_f16_e32 v46, v55, v127
	v_mul_f16_e32 v157, 0xb93d, v123
	v_add_f16_e32 v174, v178, v174
	v_mul_f16_e32 v178, 0x3abb, v151
	v_add_f16_e32 v45, v46, v45
	v_sub_f16_e32 v46, v153, v131
	v_fma_f16 v179, v126, s21, v178
	v_add_f16_e32 v45, v46, v45
	v_sub_f16_e32 v46, v157, v135
	v_add_f16_e32 v174, v179, v174
	v_mul_f16_e32 v179, 0xbb47, v139
	v_add_f16_e32 v45, v46, v45
	v_fma_f16 v46, v113, s23, v173
	v_fma_f16 v180, v112, s17, v179
	v_mul_f16_e32 v181, 0xba0c, v143
	v_add_f16_e32 v46, v104, v46
	v_fma_f16 v47, v115, s16, v175
	v_add_f16_e32 v180, v43, v180
	v_fma_f16 v182, v114, s7, v181
	;; [unrolled: 2-line block ×3, first 2 shown]
	v_add_f16_e32 v180, v182, v180
	v_mul_f16_e32 v182, 0x3482, v146
	v_add_f16_e32 v46, v47, v46
	v_fma_f16 v47, v122, s20, v177
	v_fma_f16 v183, v116, s13, v182
	v_add_f16_e32 v46, v47, v46
	v_fma_f16 v47, v126, s25, v178
	v_add_f16_e32 v180, v183, v180
	v_mul_f16_e32 v183, 0x3beb, v148
	v_add_f16_e32 v46, v47, v46
	v_fma_f16 v47, v112, s17, -v179
	v_fma_f16 v184, v119, s6, v183
	v_add_f16_e32 v47, v43, v47
	v_fma_f16 v48, v114, s7, -v181
	v_add_f16_e32 v180, v184, v180
	v_mul_f16_e32 v184, 0x3853, v150
	v_add_f16_e32 v47, v48, v47
	v_fma_f16 v48, v116, s13, -v182
	v_fma_f16 v185, v123, s19, v184
	v_mul_f16_e32 v142, 0x3abb, v142
	v_add_f16_e32 v47, v48, v47
	v_fma_f16 v48, v119, s6, -v183
	v_add_f16_e32 v180, v185, v180
	v_fma_f16 v185, v113, s25, v142
	v_mul_f16_e32 v145, 0x36a6, v145
	v_add_f16_e32 v47, v48, v47
	v_fma_f16 v48, v123, s19, -v184
	v_add_f16_e32 v185, v104, v185
	v_fma_f16 v186, v115, s24, v145
	v_mul_f16_e32 v147, 0xb08e, v147
	v_add_f16_e32 v47, v48, v47
	v_fma_f16 v48, v113, s21, v142
	v_add_f16_e32 v185, v186, v185
	v_fma_f16 v186, v118, s20, v147
	v_mul_f16_e32 v149, 0xb93d, v149
	v_add_f16_e32 v48, v104, v48
	v_fma_f16 v49, v115, s23, v145
	;; [unrolled: 5-line block ×5, first 2 shown]
	v_add_f16_e32 v186, v43, v186
	v_fma_f16 v187, v114, s17, v143
	v_mul_f16_e32 v146, 0xbbeb, v146
	v_add_f16_e32 v48, v49, v48
	v_fma_f16 v49, v112, s19, -v139
	v_add_f16_e32 v186, v187, v186
	v_fma_f16 v187, v116, s6, v146
	v_mul_f16_e32 v148, 0xba0c, v148
	v_add_f16_e32 v43, v43, v49
	v_fma_f16 v49, v114, s17, -v143
	;; [unrolled: 5-line block ×3, first 2 shown]
	v_add_f16_e32 v186, v187, v186
	v_fma_f16 v187, v123, s13, v150
	v_add_f16_e32 v43, v49, v43
	v_fma_f16 v49, v119, s7, -v148
	v_add_f16_e32 v186, v187, v186
	v_add_f16_e32 v27, v73, v27
	;; [unrolled: 1-line block ×3, first 2 shown]
	v_fma_f16 v49, v123, s13, -v150
	v_add_f16_e32 v43, v49, v43
	v_lshlrev_b32_e32 v49, 2, v71
	v_pack_b32_f16 v50, v186, v185
	v_pack_b32_f16 v27, v27, v28
	s_mov_b32 s6, 0x5040100
	ds_write2_b32 v49, v27, v50 offset1:1
	v_pack_b32_f16 v27, v180, v174
	v_perm_b32 v28, v109, v108, s6
	ds_write2_b32 v49, v27, v28 offset0:2 offset1:3
	v_pack_b32_f16 v27, v168, v162
	v_perm_b32 v28, v111, v110, s6
	ds_write2_b32 v49, v28, v27 offset0:4 offset1:5
	v_pack_b32_f16 v27, v42, v41
	v_pack_b32_f16 v28, v30, v29
	ds_write2_b32 v49, v28, v27 offset0:6 offset1:7
	v_pack_b32_f16 v27, v45, v44
	v_pack_b32_f16 v28, v47, v46
	ds_write2_b32 v49, v27, v28 offset0:8 offset1:9
	v_pack_b32_f16 v27, v43, v48
	ds_write_b32 v49, v27 offset:40
.LBB0_17:
	s_or_b64 exec, exec, s[2:3]
	v_add_u32_e32 v29, 0xe00, v57
	s_waitcnt lgkmcnt(0)
	s_barrier
	ds_read2_b32 v[49:50], v29 offset0:39 offset1:149
	v_add_u32_e32 v29, 0x200, v57
	ds_read2_b32 v[43:44], v29 offset0:92 offset1:202
	v_add_u32_e32 v29, 0x1000, v57
	v_add_u32_e32 v27, 0xa00, v57
	ds_read2_b32 v[47:48], v29 offset0:131 offset1:241
	v_add_u32_e32 v29, 0x600, v57
	v_add_u32_e32 v45, 0x1400, v57
	ds_read2_b32 v[41:42], v57 offset1:110
	ds_read2_b32 v[27:28], v27 offset0:20 offset1:185
	ds_read2_b32 v[29:30], v29 offset0:56 offset1:166
	;; [unrolled: 1-line block ×3, first 2 shown]
	s_and_saveexec_b64 s[2:3], s[4:5]
	s_cbranch_execz .LBB0_19
; %bb.18:
	ds_read_b32 v108, v57 offset:3080
	ds_read_b32 v110, v57 offset:6380
	s_waitcnt lgkmcnt(1)
	v_lshrrev_b32_e32 v109, 16, v108
	s_waitcnt lgkmcnt(0)
	v_lshrrev_b32_e32 v111, 16, v110
.LBB0_19:
	s_or_b64 exec, exec, s[2:3]
	s_waitcnt lgkmcnt(2)
	v_lshrrev_b32_e32 v52, 16, v28
	v_mul_f16_sdwa v103, v81, v52 dst_sel:DWORD dst_unused:UNUSED_PAD src0_sel:WORD_1 src1_sel:DWORD
	v_lshrrev_b32_e32 v54, 16, v49
	v_fma_f16 v103, v81, v28, v103
	v_mul_f16_sdwa v28, v81, v28 dst_sel:DWORD dst_unused:UNUSED_PAD src0_sel:WORD_1 src1_sel:DWORD
	v_fma_f16 v28, v81, v52, -v28
	v_mul_f16_sdwa v52, v82, v54 dst_sel:DWORD dst_unused:UNUSED_PAD src0_sel:WORD_1 src1_sel:DWORD
	v_lshrrev_b32_e32 v56, 16, v50
	v_fma_f16 v52, v82, v49, v52
	v_mul_f16_sdwa v49, v82, v49 dst_sel:DWORD dst_unused:UNUSED_PAD src0_sel:WORD_1 src1_sel:DWORD
	v_fma_f16 v49, v82, v54, -v49
	;; [unrolled: 5-line block ×4, first 2 shown]
	v_mul_f16_sdwa v71, v85, v73 dst_sel:DWORD dst_unused:UNUSED_PAD src0_sel:WORD_1 src1_sel:DWORD
	s_waitcnt lgkmcnt(0)
	v_lshrrev_b32_e32 v76, 16, v45
	v_fma_f16 v71, v85, v48, v71
	v_mul_f16_sdwa v48, v85, v48 dst_sel:DWORD dst_unused:UNUSED_PAD src0_sel:WORD_1 src1_sel:DWORD
	v_fma_f16 v48, v85, v73, -v48
	v_mul_f16_sdwa v73, v86, v76 dst_sel:DWORD dst_unused:UNUSED_PAD src0_sel:WORD_1 src1_sel:DWORD
	v_lshrrev_b32_e32 v80, 16, v46
	v_fma_f16 v73, v86, v45, v73
	v_mul_f16_sdwa v45, v86, v45 dst_sel:DWORD dst_unused:UNUSED_PAD src0_sel:WORD_1 src1_sel:DWORD
	v_fma_f16 v45, v86, v76, -v45
	v_mul_f16_sdwa v76, v87, v80 dst_sel:DWORD dst_unused:UNUSED_PAD src0_sel:WORD_1 src1_sel:DWORD
	v_lshrrev_b32_e32 v51, 16, v41
	v_fma_f16 v76, v87, v46, v76
	v_mul_f16_sdwa v46, v87, v46 dst_sel:DWORD dst_unused:UNUSED_PAD src0_sel:WORD_1 src1_sel:DWORD
	v_lshrrev_b32_e32 v53, 16, v42
	v_fma_f16 v46, v87, v80, -v46
	v_sub_f16_e32 v80, v41, v103
	v_sub_f16_e32 v28, v51, v28
	v_lshrrev_b32_e32 v55, 16, v43
	v_fma_f16 v41, v41, 2.0, -v80
	v_fma_f16 v51, v51, 2.0, -v28
	v_sub_f16_e32 v52, v42, v52
	v_sub_f16_e32 v49, v53, v49
	v_lshrrev_b32_e32 v70, 16, v44
	v_fma_f16 v42, v42, 2.0, -v52
	v_fma_f16 v53, v53, 2.0, -v49
	v_sub_f16_e32 v54, v43, v54
	v_sub_f16_e32 v50, v55, v50
	v_pack_b32_f16 v41, v41, v51
	v_pack_b32_f16 v28, v80, v28
	v_lshrrev_b32_e32 v72, 16, v29
	v_fma_f16 v43, v43, 2.0, -v54
	v_fma_f16 v55, v55, 2.0, -v50
	v_sub_f16_e32 v56, v44, v56
	v_sub_f16_e32 v47, v70, v47
	s_barrier
	ds_write2_b32 v88, v41, v28 offset1:11
	v_pack_b32_f16 v28, v42, v53
	v_pack_b32_f16 v41, v52, v49
	v_lshrrev_b32_e32 v74, 16, v30
	v_fma_f16 v44, v44, 2.0, -v56
	v_fma_f16 v70, v70, 2.0, -v47
	v_sub_f16_e32 v71, v29, v71
	v_sub_f16_e32 v48, v72, v48
	ds_write2_b32 v89, v28, v41 offset1:11
	v_pack_b32_f16 v28, v43, v55
	v_pack_b32_f16 v41, v54, v50
	v_lshrrev_b32_e32 v79, 16, v27
	v_fma_f16 v29, v29, 2.0, -v71
	v_fma_f16 v72, v72, 2.0, -v48
	v_sub_f16_e32 v73, v30, v73
	v_sub_f16_e32 v45, v74, v45
	ds_write2_b32 v90, v28, v41 offset1:11
	v_pack_b32_f16 v28, v44, v70
	v_pack_b32_f16 v41, v56, v47
	v_fma_f16 v30, v30, 2.0, -v73
	v_fma_f16 v74, v74, 2.0, -v45
	v_sub_f16_e32 v76, v27, v76
	v_sub_f16_e32 v46, v79, v46
	ds_write2_b32 v91, v28, v41 offset1:11
	v_pack_b32_f16 v28, v29, v72
	v_pack_b32_f16 v29, v71, v48
	v_fma_f16 v27, v27, 2.0, -v76
	v_fma_f16 v79, v79, 2.0, -v46
	ds_write2_b32 v92, v28, v29 offset1:11
	v_pack_b32_f16 v28, v30, v74
	v_pack_b32_f16 v29, v73, v45
	ds_write2_b32 v93, v28, v29 offset1:11
	v_pack_b32_f16 v27, v27, v79
	v_pack_b32_f16 v28, v76, v46
	ds_write2_b32 v94, v27, v28 offset1:11
	s_and_saveexec_b64 s[2:3], s[4:5]
	s_cbranch_execz .LBB0_21
; %bb.20:
	v_mul_f16_sdwa v27, v78, v111 dst_sel:DWORD dst_unused:UNUSED_PAD src0_sel:WORD_1 src1_sel:DWORD
	v_mul_f16_sdwa v29, v78, v110 dst_sel:DWORD dst_unused:UNUSED_PAD src0_sel:WORD_1 src1_sel:DWORD
	v_fma_f16 v27, v78, v110, v27
	v_fma_f16 v29, v78, v111, -v29
	v_sub_f16_e32 v27, v108, v27
	v_sub_f16_e32 v29, v109, v29
	v_fma_f16 v28, v108, 2.0, -v27
	v_fma_f16 v30, v109, 2.0, -v29
	v_mad_legacy_u16 v41, v75, 22, v77
	v_lshlrev_b32_e32 v41, 2, v41
	v_pack_b32_f16 v28, v28, v30
	v_pack_b32_f16 v27, v27, v29
	ds_write2_b32 v41, v28, v27 offset1:11
.LBB0_21:
	s_or_b64 exec, exec, s[2:3]
	v_add_u32_e32 v29, 0x600, v57
	s_waitcnt lgkmcnt(0)
	s_barrier
	ds_read2_b32 v[45:46], v29 offset0:56 offset1:166
	v_add_u32_e32 v30, 0x1000, v57
	ds_read2_b32 v[47:48], v30 offset0:76 offset1:186
	v_add_u32_e32 v28, 0xa00, v57
	ds_read2_b32 v[49:50], v28 offset0:20 offset1:130
	s_waitcnt lgkmcnt(2)
	v_lshrrev_b32_e32 v71, 16, v46
	v_mul_f16_sdwa v86, v33, v71 dst_sel:DWORD dst_unused:UNUSED_PAD src0_sel:WORD_1 src1_sel:DWORD
	s_waitcnt lgkmcnt(1)
	v_lshrrev_b32_e32 v72, 16, v47
	v_fma_f16 v86, v33, v46, v86
	v_mul_f16_sdwa v46, v33, v46 dst_sel:DWORD dst_unused:UNUSED_PAD src0_sel:WORD_1 src1_sel:DWORD
	v_fma_f16 v33, v33, v71, -v46
	v_mul_f16_sdwa v46, v34, v72 dst_sel:DWORD dst_unused:UNUSED_PAD src0_sel:WORD_1 src1_sel:DWORD
	s_waitcnt lgkmcnt(0)
	v_lshrrev_b32_e32 v74, 16, v49
	v_add_u32_e32 v27, 0x1400, v57
	v_fma_f16 v46, v34, v47, v46
	v_mul_f16_sdwa v47, v34, v47 dst_sel:DWORD dst_unused:UNUSED_PAD src0_sel:WORD_1 src1_sel:DWORD
	ds_read2_b32 v[53:54], v27 offset0:40 offset1:150
	v_fma_f16 v34, v34, v72, -v47
	v_mul_f16_sdwa v47, v31, v74 dst_sel:DWORD dst_unused:UNUSED_PAD src0_sel:WORD_1 src1_sel:DWORD
	v_lshrrev_b32_e32 v75, 16, v48
	v_add_u32_e32 v42, 0xc00, v57
	v_fma_f16 v47, v31, v49, v47
	v_mul_f16_sdwa v49, v31, v49 dst_sel:DWORD dst_unused:UNUSED_PAD src0_sel:WORD_1 src1_sel:DWORD
	ds_read2_b32 v[55:56], v42 offset0:112 offset1:222
	v_fma_f16 v31, v31, v74, -v49
	v_mul_f16_sdwa v49, v32, v75 dst_sel:DWORD dst_unused:UNUSED_PAD src0_sel:WORD_1 src1_sel:DWORD
	v_lshrrev_b32_e32 v77, 16, v50
	v_fma_f16 v49, v32, v48, v49
	v_mul_f16_sdwa v48, v32, v48 dst_sel:DWORD dst_unused:UNUSED_PAD src0_sel:WORD_1 src1_sel:DWORD
	v_fma_f16 v32, v32, v75, -v48
	v_mul_f16_sdwa v48, v35, v77 dst_sel:DWORD dst_unused:UNUSED_PAD src0_sel:WORD_1 src1_sel:DWORD
	s_waitcnt lgkmcnt(1)
	v_lshrrev_b32_e32 v78, 16, v53
	v_fma_f16 v48, v35, v50, v48
	v_mul_f16_sdwa v50, v35, v50 dst_sel:DWORD dst_unused:UNUSED_PAD src0_sel:WORD_1 src1_sel:DWORD
	v_fma_f16 v35, v35, v77, -v50
	v_mul_f16_sdwa v50, v36, v78 dst_sel:DWORD dst_unused:UNUSED_PAD src0_sel:WORD_1 src1_sel:DWORD
	s_waitcnt lgkmcnt(0)
	v_lshrrev_b32_e32 v81, 16, v55
	v_fma_f16 v50, v36, v53, v50
	v_mul_f16_sdwa v53, v36, v53 dst_sel:DWORD dst_unused:UNUSED_PAD src0_sel:WORD_1 src1_sel:DWORD
	ds_read_b32 v80, v57 offset:6160
	v_fma_f16 v36, v36, v78, -v53
	v_mul_f16_sdwa v53, v37, v81 dst_sel:DWORD dst_unused:UNUSED_PAD src0_sel:WORD_1 src1_sel:DWORD
	v_lshrrev_b32_e32 v82, 16, v54
	v_fma_f16 v53, v37, v55, v53
	v_mul_f16_sdwa v55, v37, v55 dst_sel:DWORD dst_unused:UNUSED_PAD src0_sel:WORD_1 src1_sel:DWORD
	ds_read2_b32 v[43:44], v57 offset1:110
	v_fma_f16 v37, v37, v81, -v55
	v_mul_f16_sdwa v55, v38, v82 dst_sel:DWORD dst_unused:UNUSED_PAD src0_sel:WORD_1 src1_sel:DWORD
	v_lshrrev_b32_e32 v84, 16, v56
	v_fma_f16 v55, v38, v54, v55
	v_mul_f16_sdwa v54, v38, v54 dst_sel:DWORD dst_unused:UNUSED_PAD src0_sel:WORD_1 src1_sel:DWORD
	v_fma_f16 v38, v38, v82, -v54
	v_mul_f16_sdwa v54, v39, v84 dst_sel:DWORD dst_unused:UNUSED_PAD src0_sel:WORD_1 src1_sel:DWORD
	s_waitcnt lgkmcnt(1)
	v_lshrrev_b32_e32 v85, 16, v80
	v_fma_f16 v54, v39, v56, v54
	v_mul_f16_sdwa v56, v39, v56 dst_sel:DWORD dst_unused:UNUSED_PAD src0_sel:WORD_1 src1_sel:DWORD
	v_fma_f16 v39, v39, v84, -v56
	v_mul_f16_sdwa v56, v40, v85 dst_sel:DWORD dst_unused:UNUSED_PAD src0_sel:WORD_1 src1_sel:DWORD
	v_mul_f16_sdwa v71, v40, v80 dst_sel:DWORD dst_unused:UNUSED_PAD src0_sel:WORD_1 src1_sel:DWORD
	v_add_f16_e32 v72, v86, v46
	s_waitcnt lgkmcnt(0)
	v_lshrrev_b32_e32 v70, 16, v43
	v_add_u32_e32 v41, 0x200, v57
	v_fma_f16 v56, v40, v80, v56
	v_fma_f16 v40, v40, v85, -v71
	v_add_f16_e32 v71, v43, v86
	v_fma_f16 v43, v72, -0.5, v43
	v_sub_f16_e32 v72, v33, v34
	s_mov_b32 s2, 0xbaee
	s_movk_i32 s3, 0x3aee
	ds_read2_b32 v[51:52], v41 offset0:92 offset1:202
	v_fma_f16 v74, v72, s2, v43
	v_fma_f16 v43, v72, s3, v43
	v_add_f16_e32 v72, v70, v33
	v_add_f16_e32 v33, v33, v34
	;; [unrolled: 1-line block ×3, first 2 shown]
	v_fma_f16 v33, v33, -0.5, v70
	v_sub_f16_e32 v34, v86, v46
	v_add_f16_e32 v70, v47, v49
	v_lshrrev_b32_e32 v73, 16, v44
	v_add_f16_e32 v71, v71, v46
	v_fma_f16 v46, v34, s3, v33
	v_fma_f16 v33, v34, s2, v33
	v_add_f16_e32 v34, v44, v47
	v_fma_f16 v44, v70, -0.5, v44
	v_sub_f16_e32 v70, v31, v32
	v_fma_f16 v75, v70, s2, v44
	v_fma_f16 v44, v70, s3, v44
	v_add_f16_e32 v70, v73, v31
	v_add_f16_e32 v31, v31, v32
	;; [unrolled: 1-line block ×4, first 2 shown]
	v_fma_f16 v31, v31, -0.5, v73
	v_sub_f16_e32 v32, v47, v49
	v_add_f16_e32 v49, v48, v50
	s_waitcnt lgkmcnt(0)
	v_lshrrev_b32_e32 v76, 16, v51
	v_fma_f16 v47, v32, s3, v31
	v_fma_f16 v31, v32, s2, v31
	v_add_f16_e32 v32, v51, v48
	v_fma_f16 v49, v49, -0.5, v51
	v_sub_f16_e32 v51, v35, v36
	v_fma_f16 v73, v51, s2, v49
	v_fma_f16 v49, v51, s3, v49
	v_add_f16_e32 v51, v76, v35
	v_add_f16_e32 v35, v35, v36
	;; [unrolled: 1-line block ×4, first 2 shown]
	v_fma_f16 v35, v35, -0.5, v76
	v_sub_f16_e32 v36, v48, v50
	v_add_f16_e32 v50, v53, v55
	v_lshrrev_b32_e32 v79, 16, v52
	v_fma_f16 v48, v36, s3, v35
	v_fma_f16 v35, v36, s2, v35
	v_add_f16_e32 v36, v52, v53
	v_fma_f16 v50, v50, -0.5, v52
	v_sub_f16_e32 v52, v37, v38
	v_fma_f16 v76, v52, s2, v50
	v_fma_f16 v50, v52, s3, v50
	v_add_f16_e32 v52, v79, v37
	v_add_f16_e32 v37, v37, v38
	;; [unrolled: 1-line block ×4, first 2 shown]
	v_fma_f16 v37, v37, -0.5, v79
	v_sub_f16_e32 v38, v53, v55
	v_add_f16_e32 v55, v54, v56
	v_lshrrev_b32_e32 v83, 16, v45
	v_fma_f16 v53, v38, s3, v37
	v_fma_f16 v37, v38, s2, v37
	v_add_f16_e32 v38, v45, v54
	v_fma_f16 v45, v55, -0.5, v45
	v_sub_f16_e32 v55, v39, v40
	v_fma_f16 v77, v55, s2, v45
	v_fma_f16 v45, v55, s3, v45
	v_add_f16_e32 v55, v83, v39
	v_add_f16_e32 v39, v39, v40
	;; [unrolled: 1-line block ×3, first 2 shown]
	v_fma_f16 v39, v39, -0.5, v83
	v_sub_f16_e32 v40, v54, v56
	v_fma_f16 v54, v40, s3, v39
	v_fma_f16 v39, v40, s2, v39
	v_pack_b32_f16 v40, v71, v72
	v_pack_b32_f16 v46, v74, v46
	;; [unrolled: 1-line block ×4, first 2 shown]
	s_barrier
	ds_write2_b32 v95, v40, v46 offset1:22
	ds_write_b32 v95, v33 offset:176
	v_pack_b32_f16 v33, v34, v70
	v_pack_b32_f16 v34, v75, v47
	ds_write_b32 v96, v31 offset:176
	v_pack_b32_f16 v31, v32, v51
	v_pack_b32_f16 v32, v73, v48
	ds_write2_b32 v96, v33, v34 offset1:22
	ds_write2_b32 v97, v31, v32 offset1:22
	v_pack_b32_f16 v31, v49, v35
	ds_write_b32 v97, v31 offset:176
	v_pack_b32_f16 v31, v36, v52
	v_pack_b32_f16 v32, v76, v53
	v_add_f16_e32 v38, v38, v56
	ds_write2_b32 v98, v31, v32 offset1:22
	v_pack_b32_f16 v31, v50, v37
	ds_write_b32 v98, v31 offset:176
	v_pack_b32_f16 v31, v38, v55
	v_pack_b32_f16 v32, v77, v54
	ds_write2_b32 v99, v31, v32 offset1:22
	v_pack_b32_f16 v31, v45, v39
	ds_write_b32 v99, v31 offset:176
	s_waitcnt lgkmcnt(0)
	s_barrier
	ds_read2_b32 v[31:32], v57 offset1:110
	ds_read2_b32 v[33:34], v41 offset0:92 offset1:202
	ds_read2_b32 v[35:36], v28 offset0:20 offset1:130
	;; [unrolled: 1-line block ×5, first 2 shown]
	s_waitcnt lgkmcnt(4)
	v_lshrrev_b32_e32 v48, 16, v34
	v_mul_f16_sdwa v76, v0, v48 dst_sel:DWORD dst_unused:UNUSED_PAD src0_sel:WORD_1 src1_sel:DWORD
	s_waitcnt lgkmcnt(3)
	v_lshrrev_b32_e32 v49, 16, v35
	v_fma_f16 v76, v0, v34, v76
	v_mul_f16_sdwa v34, v0, v34 dst_sel:DWORD dst_unused:UNUSED_PAD src0_sel:WORD_1 src1_sel:DWORD
	v_fma_f16 v0, v0, v48, -v34
	v_mul_f16_sdwa v34, v1, v49 dst_sel:DWORD dst_unused:UNUSED_PAD src0_sel:WORD_1 src1_sel:DWORD
	s_waitcnt lgkmcnt(2)
	v_lshrrev_b32_e32 v50, 16, v38
	v_fma_f16 v34, v1, v35, v34
	v_mul_f16_sdwa v35, v1, v35 dst_sel:DWORD dst_unused:UNUSED_PAD src0_sel:WORD_1 src1_sel:DWORD
	v_fma_f16 v1, v1, v49, -v35
	v_mul_f16_sdwa v35, v2, v50 dst_sel:DWORD dst_unused:UNUSED_PAD src0_sel:WORD_1 src1_sel:DWORD
	s_waitcnt lgkmcnt(1)
	v_lshrrev_b32_e32 v51, 16, v39
	v_fma_f16 v35, v2, v38, v35
	v_mul_f16_sdwa v38, v2, v38 dst_sel:DWORD dst_unused:UNUSED_PAD src0_sel:WORD_1 src1_sel:DWORD
	ds_read2_b32 v[45:46], v30 offset0:76 offset1:186
	v_fma_f16 v2, v2, v50, -v38
	v_mul_f16_sdwa v38, v3, v51 dst_sel:DWORD dst_unused:UNUSED_PAD src0_sel:WORD_1 src1_sel:DWORD
	s_waitcnt lgkmcnt(1)
	v_lshrrev_b32_e32 v53, 16, v43
	v_fma_f16 v38, v3, v39, v38
	v_mul_f16_sdwa v39, v3, v39 dst_sel:DWORD dst_unused:UNUSED_PAD src0_sel:WORD_1 src1_sel:DWORD
	v_fma_f16 v3, v3, v51, -v39
	v_mul_f16_sdwa v39, v4, v53 dst_sel:DWORD dst_unused:UNUSED_PAD src0_sel:WORD_1 src1_sel:DWORD
	v_lshrrev_b32_e32 v54, 16, v36
	v_fma_f16 v39, v4, v43, v39
	v_mul_f16_sdwa v43, v4, v43 dst_sel:DWORD dst_unused:UNUSED_PAD src0_sel:WORD_1 src1_sel:DWORD
	v_fma_f16 v4, v4, v53, -v43
	v_mul_f16_sdwa v43, v5, v54 dst_sel:DWORD dst_unused:UNUSED_PAD src0_sel:WORD_1 src1_sel:DWORD
	s_waitcnt lgkmcnt(0)
	v_lshrrev_b32_e32 v55, 16, v45
	v_fma_f16 v43, v5, v36, v43
	v_mul_f16_sdwa v36, v5, v36 dst_sel:DWORD dst_unused:UNUSED_PAD src0_sel:WORD_1 src1_sel:DWORD
	v_fma_f16 v5, v5, v54, -v36
	v_mul_f16_sdwa v36, v6, v55 dst_sel:DWORD dst_unused:UNUSED_PAD src0_sel:WORD_1 src1_sel:DWORD
	v_lshrrev_b32_e32 v56, 16, v40
	v_fma_f16 v36, v6, v45, v36
	v_mul_f16_sdwa v45, v6, v45 dst_sel:DWORD dst_unused:UNUSED_PAD src0_sel:WORD_1 src1_sel:DWORD
	v_fma_f16 v6, v6, v55, -v45
	v_mul_f16_sdwa v45, v7, v56 dst_sel:DWORD dst_unused:UNUSED_PAD src0_sel:WORD_1 src1_sel:DWORD
	v_lshrrev_b32_e32 v72, 16, v44
	v_fma_f16 v45, v7, v40, v45
	v_mul_f16_sdwa v40, v7, v40 dst_sel:DWORD dst_unused:UNUSED_PAD src0_sel:WORD_1 src1_sel:DWORD
	ds_read_b32 v70, v57 offset:6160
	v_fma_f16 v7, v7, v56, -v40
	v_mul_f16_sdwa v40, v8, v72 dst_sel:DWORD dst_unused:UNUSED_PAD src0_sel:WORD_1 src1_sel:DWORD
	v_lshrrev_b32_e32 v73, 16, v37
	v_fma_f16 v40, v8, v44, v40
	v_mul_f16_sdwa v44, v8, v44 dst_sel:DWORD dst_unused:UNUSED_PAD src0_sel:WORD_1 src1_sel:DWORD
	v_fma_f16 v8, v8, v72, -v44
	v_mul_f16_sdwa v44, v9, v73 dst_sel:DWORD dst_unused:UNUSED_PAD src0_sel:WORD_1 src1_sel:DWORD
	v_lshrrev_b32_e32 v74, 16, v46
	v_fma_f16 v44, v9, v37, v44
	v_mul_f16_sdwa v37, v9, v37 dst_sel:DWORD dst_unused:UNUSED_PAD src0_sel:WORD_1 src1_sel:DWORD
	v_add_f16_e32 v49, v34, v35
	v_fma_f16 v9, v9, v73, -v37
	v_mul_f16_sdwa v37, v10, v74 dst_sel:DWORD dst_unused:UNUSED_PAD src0_sel:WORD_1 src1_sel:DWORD
	v_fma_f16 v49, v49, -0.5, v31
	v_sub_f16_e32 v50, v0, v3
	s_mov_b32 s3, 0xbb9c
	s_movk_i32 s5, 0x3b9c
	s_waitcnt lgkmcnt(0)
	v_lshrrev_b32_e32 v75, 16, v70
	v_fma_f16 v37, v10, v46, v37
	v_mul_f16_sdwa v46, v10, v46 dst_sel:DWORD dst_unused:UNUSED_PAD src0_sel:WORD_1 src1_sel:DWORD
	v_fma_f16 v51, v50, s3, v49
	v_sub_f16_e32 v53, v1, v2
	s_mov_b32 s2, 0xb8b4
	v_sub_f16_e32 v54, v76, v34
	v_sub_f16_e32 v55, v38, v35
	v_fma_f16 v49, v50, s5, v49
	s_movk_i32 s6, 0x38b4
	v_fma_f16 v10, v10, v74, -v46
	v_mul_f16_sdwa v46, v11, v75 dst_sel:DWORD dst_unused:UNUSED_PAD src0_sel:WORD_1 src1_sel:DWORD
	v_mul_f16_sdwa v48, v11, v70 dst_sel:DWORD dst_unused:UNUSED_PAD src0_sel:WORD_1 src1_sel:DWORD
	v_fma_f16 v51, v53, s2, v51
	v_add_f16_e32 v54, v54, v55
	s_movk_i32 s4, 0x34f2
	v_fma_f16 v49, v53, s6, v49
	v_fma_f16 v46, v11, v70, v46
	v_fma_f16 v11, v11, v75, -v48
	v_add_f16_e32 v48, v31, v76
	v_fma_f16 v51, v54, s4, v51
	v_fma_f16 v49, v54, s4, v49
	v_add_f16_e32 v54, v76, v38
	v_lshrrev_b32_e32 v47, 16, v31
	v_add_f16_e32 v48, v48, v34
	v_fma_f16 v31, v54, -0.5, v31
	v_add_f16_e32 v48, v48, v35
	v_fma_f16 v54, v53, s5, v31
	v_sub_f16_e32 v55, v34, v76
	v_sub_f16_e32 v56, v35, v38
	v_fma_f16 v31, v53, s3, v31
	v_add_f16_e32 v53, v1, v2
	v_add_f16_e32 v48, v48, v38
	v_fma_f16 v54, v50, s2, v54
	v_add_f16_e32 v55, v55, v56
	v_fma_f16 v31, v50, s6, v31
	v_fma_f16 v53, v53, -0.5, v47
	v_sub_f16_e32 v38, v76, v38
	v_fma_f16 v54, v55, s4, v54
	v_fma_f16 v31, v55, s4, v31
	;; [unrolled: 1-line block ×3, first 2 shown]
	v_sub_f16_e32 v34, v34, v35
	v_fma_f16 v35, v34, s6, v55
	v_sub_f16_e32 v55, v0, v1
	v_sub_f16_e32 v56, v3, v2
	v_fma_f16 v53, v38, s3, v53
	v_add_f16_e32 v50, v47, v0
	v_add_f16_e32 v55, v55, v56
	v_fma_f16 v53, v34, s2, v53
	v_add_f16_e32 v50, v50, v1
	v_fma_f16 v35, v55, s4, v35
	v_fma_f16 v53, v55, s4, v53
	v_add_f16_e32 v55, v0, v3
	v_add_f16_e32 v50, v50, v2
	v_fma_f16 v47, v55, -0.5, v47
	v_add_f16_e32 v50, v50, v3
	v_fma_f16 v55, v34, s3, v47
	v_sub_f16_e32 v0, v1, v0
	v_sub_f16_e32 v1, v2, v3
	v_add_f16_e32 v3, v43, v36
	v_fma_f16 v55, v38, s6, v55
	v_add_f16_e32 v0, v0, v1
	v_fma_f16 v2, v34, s5, v47
	v_fma_f16 v3, v3, -0.5, v32
	v_sub_f16_e32 v34, v4, v7
	v_fma_f16 v1, v0, s4, v55
	v_fma_f16 v2, v38, s2, v2
	;; [unrolled: 1-line block ×3, first 2 shown]
	v_sub_f16_e32 v47, v5, v6
	v_sub_f16_e32 v55, v39, v43
	;; [unrolled: 1-line block ×3, first 2 shown]
	v_fma_f16 v3, v34, s5, v3
	v_fma_f16 v38, v47, s2, v38
	v_add_f16_e32 v55, v55, v56
	v_fma_f16 v3, v47, s6, v3
	v_fma_f16 v38, v55, s4, v38
	;; [unrolled: 1-line block ×3, first 2 shown]
	v_add_f16_e32 v55, v39, v45
	v_lshrrev_b32_e32 v52, 16, v32
	v_fma_f16 v0, v0, s4, v2
	v_add_f16_e32 v2, v32, v39
	v_fma_f16 v32, v55, -0.5, v32
	v_add_f16_e32 v2, v2, v43
	v_fma_f16 v55, v47, s5, v32
	v_fma_f16 v32, v47, s3, v32
	v_add_f16_e32 v47, v5, v6
	v_add_f16_e32 v2, v2, v36
	v_sub_f16_e32 v56, v43, v39
	v_sub_f16_e32 v70, v36, v45
	v_fma_f16 v47, v47, -0.5, v52
	v_sub_f16_e32 v39, v39, v45
	v_add_f16_e32 v2, v2, v45
	v_fma_f16 v55, v34, s2, v55
	v_add_f16_e32 v56, v56, v70
	v_fma_f16 v32, v34, s6, v32
	v_fma_f16 v45, v39, s5, v47
	v_sub_f16_e32 v36, v43, v36
	v_fma_f16 v55, v56, s4, v55
	v_fma_f16 v32, v56, s4, v32
	;; [unrolled: 1-line block ×3, first 2 shown]
	v_sub_f16_e32 v45, v4, v5
	v_sub_f16_e32 v56, v7, v6
	v_fma_f16 v47, v39, s3, v47
	v_add_f16_e32 v34, v52, v4
	v_add_f16_e32 v45, v45, v56
	v_fma_f16 v47, v36, s2, v47
	v_add_f16_e32 v34, v34, v5
	v_fma_f16 v43, v45, s4, v43
	v_fma_f16 v45, v45, s4, v47
	v_add_f16_e32 v47, v4, v7
	v_add_f16_e32 v34, v34, v6
	v_fma_f16 v47, v47, -0.5, v52
	v_add_f16_e32 v34, v34, v7
	v_fma_f16 v52, v36, s3, v47
	v_sub_f16_e32 v4, v5, v4
	v_sub_f16_e32 v5, v6, v7
	v_add_f16_e32 v7, v44, v37
	v_fma_f16 v52, v39, s6, v52
	v_add_f16_e32 v4, v4, v5
	v_fma_f16 v6, v36, s5, v47
	v_fma_f16 v7, v7, -0.5, v33
	v_sub_f16_e32 v36, v8, v11
	v_fma_f16 v5, v4, s4, v52
	v_fma_f16 v6, v39, s2, v6
	;; [unrolled: 1-line block ×3, first 2 shown]
	v_sub_f16_e32 v47, v9, v10
	v_sub_f16_e32 v52, v40, v44
	;; [unrolled: 1-line block ×3, first 2 shown]
	v_fma_f16 v7, v36, s5, v7
	v_fma_f16 v39, v47, s2, v39
	v_add_f16_e32 v52, v52, v56
	v_fma_f16 v7, v47, s6, v7
	v_fma_f16 v39, v52, s4, v39
	v_fma_f16 v7, v52, s4, v7
	v_add_f16_e32 v52, v40, v46
	v_lshrrev_b32_e32 v71, 16, v33
	v_fma_f16 v4, v4, s4, v6
	v_add_f16_e32 v6, v33, v40
	v_fma_f16 v33, v52, -0.5, v33
	v_add_f16_e32 v6, v6, v44
	v_fma_f16 v52, v47, s5, v33
	v_fma_f16 v33, v47, s3, v33
	v_add_f16_e32 v47, v9, v10
	v_add_f16_e32 v6, v6, v37
	v_sub_f16_e32 v56, v44, v40
	v_sub_f16_e32 v70, v37, v46
	v_fma_f16 v47, v47, -0.5, v71
	v_sub_f16_e32 v40, v40, v46
	v_add_f16_e32 v6, v6, v46
	v_fma_f16 v52, v36, s2, v52
	v_add_f16_e32 v56, v56, v70
	v_fma_f16 v33, v36, s6, v33
	v_fma_f16 v46, v40, s5, v47
	v_sub_f16_e32 v37, v44, v37
	v_fma_f16 v52, v56, s4, v52
	v_fma_f16 v33, v56, s4, v33
	;; [unrolled: 1-line block ×3, first 2 shown]
	v_sub_f16_e32 v46, v8, v9
	v_sub_f16_e32 v56, v11, v10
	v_fma_f16 v47, v40, s3, v47
	v_add_f16_e32 v46, v46, v56
	v_fma_f16 v47, v37, s2, v47
	v_add_f16_e32 v36, v71, v8
	v_fma_f16 v44, v46, s4, v44
	v_fma_f16 v46, v46, s4, v47
	v_add_f16_e32 v47, v8, v11
	v_add_f16_e32 v36, v36, v9
	v_fma_f16 v47, v47, -0.5, v71
	v_add_f16_e32 v36, v36, v10
	v_fma_f16 v56, v37, s3, v47
	v_sub_f16_e32 v8, v9, v8
	v_sub_f16_e32 v9, v10, v11
	v_fma_f16 v10, v37, s5, v47
	v_pack_b32_f16 v1, v54, v1
	v_pack_b32_f16 v0, v31, v0
	v_fma_f16 v56, v40, s6, v56
	v_add_f16_e32 v8, v8, v9
	v_fma_f16 v10, v40, s2, v10
	s_barrier
	ds_write2_b32 v100, v1, v0 offset0:132 offset1:198
	v_pack_b32_f16 v0, v49, v53
	v_add_f16_e32 v36, v36, v11
	v_fma_f16 v9, v8, s4, v56
	v_fma_f16 v8, v8, s4, v10
	v_pack_b32_f16 v10, v48, v50
	v_pack_b32_f16 v11, v51, v35
	ds_write_b32 v100, v0 offset:1056
	v_pack_b32_f16 v0, v2, v34
	v_pack_b32_f16 v1, v38, v43
	ds_write2_b32 v100, v10, v11 offset1:66
	ds_write2_b32 v101, v0, v1 offset1:66
	v_pack_b32_f16 v0, v55, v5
	v_pack_b32_f16 v1, v32, v4
	ds_write2_b32 v101, v0, v1 offset0:132 offset1:198
	v_pack_b32_f16 v0, v3, v45
	ds_write_b32 v101, v0 offset:1056
	v_pack_b32_f16 v0, v6, v36
	v_pack_b32_f16 v1, v39, v44
	ds_write2_b32 v102, v0, v1 offset1:66
	v_pack_b32_f16 v0, v52, v9
	v_pack_b32_f16 v1, v33, v8
	ds_write2_b32 v102, v0, v1 offset0:132 offset1:198
	v_pack_b32_f16 v0, v7, v46
	ds_write_b32 v102, v0 offset:1056
	s_waitcnt lgkmcnt(0)
	s_barrier
	ds_read2_b32 v[0:1], v57 offset1:110
	ds_read2_b32 v[2:3], v41 offset0:92 offset1:202
	ds_read2_b32 v[4:5], v28 offset0:20 offset1:130
	;; [unrolled: 1-line block ×5, first 2 shown]
	s_waitcnt lgkmcnt(4)
	v_lshrrev_b32_e32 v34, 16, v3
	v_mul_f16_sdwa v51, v12, v34 dst_sel:DWORD dst_unused:UNUSED_PAD src0_sel:WORD_1 src1_sel:DWORD
	s_waitcnt lgkmcnt(3)
	v_lshrrev_b32_e32 v35, 16, v4
	v_fma_f16 v51, v12, v3, v51
	v_mul_f16_sdwa v3, v12, v3 dst_sel:DWORD dst_unused:UNUSED_PAD src0_sel:WORD_1 src1_sel:DWORD
	v_fma_f16 v3, v12, v34, -v3
	v_mul_f16_sdwa v12, v13, v35 dst_sel:DWORD dst_unused:UNUSED_PAD src0_sel:WORD_1 src1_sel:DWORD
	s_waitcnt lgkmcnt(2)
	v_lshrrev_b32_e32 v36, 16, v7
	v_fma_f16 v12, v13, v4, v12
	v_mul_f16_sdwa v4, v13, v4 dst_sel:DWORD dst_unused:UNUSED_PAD src0_sel:WORD_1 src1_sel:DWORD
	v_fma_f16 v4, v13, v35, -v4
	v_mul_f16_sdwa v13, v14, v36 dst_sel:DWORD dst_unused:UNUSED_PAD src0_sel:WORD_1 src1_sel:DWORD
	s_waitcnt lgkmcnt(1)
	v_lshrrev_b32_e32 v37, 16, v8
	v_fma_f16 v13, v14, v7, v13
	v_mul_f16_sdwa v7, v14, v7 dst_sel:DWORD dst_unused:UNUSED_PAD src0_sel:WORD_1 src1_sel:DWORD
	ds_read2_b32 v[31:32], v30 offset0:76 offset1:186
	v_fma_f16 v7, v14, v36, -v7
	v_mul_f16_sdwa v14, v15, v37 dst_sel:DWORD dst_unused:UNUSED_PAD src0_sel:WORD_1 src1_sel:DWORD
	s_waitcnt lgkmcnt(1)
	v_lshrrev_b32_e32 v39, 16, v10
	v_fma_f16 v14, v15, v8, v14
	v_mul_f16_sdwa v8, v15, v8 dst_sel:DWORD dst_unused:UNUSED_PAD src0_sel:WORD_1 src1_sel:DWORD
	v_fma_f16 v8, v15, v37, -v8
	v_mul_f16_sdwa v15, v16, v39 dst_sel:DWORD dst_unused:UNUSED_PAD src0_sel:WORD_1 src1_sel:DWORD
	v_lshrrev_b32_e32 v40, 16, v5
	v_fma_f16 v15, v16, v10, v15
	v_mul_f16_sdwa v10, v16, v10 dst_sel:DWORD dst_unused:UNUSED_PAD src0_sel:WORD_1 src1_sel:DWORD
	v_fma_f16 v10, v16, v39, -v10
	v_mul_f16_sdwa v16, v17, v40 dst_sel:DWORD dst_unused:UNUSED_PAD src0_sel:WORD_1 src1_sel:DWORD
	s_waitcnt lgkmcnt(0)
	v_lshrrev_b32_e32 v43, 16, v31
	v_fma_f16 v16, v17, v5, v16
	v_mul_f16_sdwa v5, v17, v5 dst_sel:DWORD dst_unused:UNUSED_PAD src0_sel:WORD_1 src1_sel:DWORD
	v_fma_f16 v5, v17, v40, -v5
	v_mul_f16_sdwa v17, v18, v43 dst_sel:DWORD dst_unused:UNUSED_PAD src0_sel:WORD_1 src1_sel:DWORD
	v_lshrrev_b32_e32 v44, 16, v9
	v_fma_f16 v17, v18, v31, v17
	v_mul_f16_sdwa v31, v18, v31 dst_sel:DWORD dst_unused:UNUSED_PAD src0_sel:WORD_1 src1_sel:DWORD
	v_fma_f16 v18, v18, v43, -v31
	v_mul_f16_sdwa v31, v19, v44 dst_sel:DWORD dst_unused:UNUSED_PAD src0_sel:WORD_1 src1_sel:DWORD
	v_lshrrev_b32_e32 v47, 16, v11
	v_fma_f16 v31, v19, v9, v31
	v_mul_f16_sdwa v9, v19, v9 dst_sel:DWORD dst_unused:UNUSED_PAD src0_sel:WORD_1 src1_sel:DWORD
	ds_read_b32 v45, v57 offset:6160
	v_fma_f16 v9, v19, v44, -v9
	v_mul_f16_sdwa v19, v20, v47 dst_sel:DWORD dst_unused:UNUSED_PAD src0_sel:WORD_1 src1_sel:DWORD
	v_lshrrev_b32_e32 v48, 16, v6
	v_fma_f16 v19, v20, v11, v19
	v_mul_f16_sdwa v11, v20, v11 dst_sel:DWORD dst_unused:UNUSED_PAD src0_sel:WORD_1 src1_sel:DWORD
	v_fma_f16 v11, v20, v47, -v11
	v_mul_f16_sdwa v20, v21, v48 dst_sel:DWORD dst_unused:UNUSED_PAD src0_sel:WORD_1 src1_sel:DWORD
	v_lshrrev_b32_e32 v49, 16, v32
	v_fma_f16 v20, v21, v6, v20
	v_mul_f16_sdwa v6, v21, v6 dst_sel:DWORD dst_unused:UNUSED_PAD src0_sel:WORD_1 src1_sel:DWORD
	v_add_f16_e32 v35, v12, v13
	v_fma_f16 v6, v21, v48, -v6
	v_mul_f16_sdwa v21, v22, v49 dst_sel:DWORD dst_unused:UNUSED_PAD src0_sel:WORD_1 src1_sel:DWORD
	v_fma_f16 v35, v35, -0.5, v0
	v_sub_f16_e32 v36, v3, v8
	s_waitcnt lgkmcnt(0)
	v_lshrrev_b32_e32 v50, 16, v45
	v_fma_f16 v21, v22, v32, v21
	v_mul_f16_sdwa v32, v22, v32 dst_sel:DWORD dst_unused:UNUSED_PAD src0_sel:WORD_1 src1_sel:DWORD
	v_fma_f16 v37, v36, s3, v35
	v_sub_f16_e32 v39, v4, v7
	v_sub_f16_e32 v40, v51, v12
	;; [unrolled: 1-line block ×3, first 2 shown]
	v_fma_f16 v35, v36, s5, v35
	v_fma_f16 v22, v22, v49, -v32
	v_mul_f16_sdwa v32, v23, v50 dst_sel:DWORD dst_unused:UNUSED_PAD src0_sel:WORD_1 src1_sel:DWORD
	v_mul_f16_sdwa v34, v23, v45 dst_sel:DWORD dst_unused:UNUSED_PAD src0_sel:WORD_1 src1_sel:DWORD
	v_fma_f16 v37, v39, s2, v37
	v_add_f16_e32 v40, v40, v43
	v_fma_f16 v35, v39, s6, v35
	v_fma_f16 v32, v23, v45, v32
	v_fma_f16 v23, v23, v50, -v34
	v_add_f16_e32 v34, v0, v51
	v_fma_f16 v37, v40, s4, v37
	v_fma_f16 v35, v40, s4, v35
	v_add_f16_e32 v40, v51, v14
	v_lshrrev_b32_e32 v33, 16, v0
	v_add_f16_e32 v34, v34, v12
	v_fma_f16 v0, v40, -0.5, v0
	v_add_f16_e32 v34, v34, v13
	v_fma_f16 v40, v39, s5, v0
	v_sub_f16_e32 v43, v12, v51
	v_sub_f16_e32 v44, v13, v14
	v_fma_f16 v0, v39, s3, v0
	v_add_f16_e32 v39, v4, v7
	v_add_f16_e32 v34, v34, v14
	v_fma_f16 v40, v36, s2, v40
	v_add_f16_e32 v43, v43, v44
	v_fma_f16 v0, v36, s6, v0
	v_fma_f16 v39, v39, -0.5, v33
	v_sub_f16_e32 v14, v51, v14
	v_fma_f16 v40, v43, s4, v40
	v_fma_f16 v0, v43, s4, v0
	v_fma_f16 v43, v14, s5, v39
	v_sub_f16_e32 v12, v12, v13
	v_fma_f16 v13, v12, s6, v43
	v_sub_f16_e32 v43, v3, v4
	v_sub_f16_e32 v44, v8, v7
	v_fma_f16 v39, v14, s3, v39
	v_add_f16_e32 v36, v33, v3
	v_add_f16_e32 v43, v43, v44
	v_fma_f16 v39, v12, s2, v39
	v_add_f16_e32 v36, v36, v4
	v_fma_f16 v13, v43, s4, v13
	v_fma_f16 v39, v43, s4, v39
	v_add_f16_e32 v43, v3, v8
	v_add_f16_e32 v36, v36, v7
	v_fma_f16 v33, v43, -0.5, v33
	v_add_f16_e32 v36, v36, v8
	v_fma_f16 v43, v12, s3, v33
	v_sub_f16_e32 v3, v4, v3
	v_sub_f16_e32 v4, v7, v8
	v_add_f16_e32 v8, v16, v17
	v_fma_f16 v43, v14, s6, v43
	v_add_f16_e32 v3, v3, v4
	v_fma_f16 v7, v12, s5, v33
	v_fma_f16 v8, v8, -0.5, v1
	v_sub_f16_e32 v12, v10, v9
	v_fma_f16 v4, v3, s4, v43
	v_fma_f16 v7, v14, s2, v7
	;; [unrolled: 1-line block ×3, first 2 shown]
	v_sub_f16_e32 v33, v5, v18
	v_sub_f16_e32 v43, v15, v16
	;; [unrolled: 1-line block ×3, first 2 shown]
	v_fma_f16 v8, v12, s5, v8
	v_fma_f16 v14, v33, s2, v14
	v_add_f16_e32 v43, v43, v44
	v_fma_f16 v8, v33, s6, v8
	v_fma_f16 v14, v43, s4, v14
	;; [unrolled: 1-line block ×3, first 2 shown]
	v_add_f16_e32 v43, v15, v31
	v_lshrrev_b32_e32 v38, 16, v1
	v_fma_f16 v3, v3, s4, v7
	v_add_f16_e32 v7, v1, v15
	v_fma_f16 v1, v43, -0.5, v1
	v_add_f16_e32 v7, v7, v16
	v_fma_f16 v43, v33, s5, v1
	v_fma_f16 v1, v33, s3, v1
	v_add_f16_e32 v33, v5, v18
	v_add_f16_e32 v7, v7, v17
	v_sub_f16_e32 v44, v16, v15
	v_sub_f16_e32 v45, v17, v31
	v_fma_f16 v33, v33, -0.5, v38
	v_sub_f16_e32 v15, v15, v31
	v_add_f16_e32 v7, v7, v31
	v_fma_f16 v43, v12, s2, v43
	v_add_f16_e32 v44, v44, v45
	v_fma_f16 v1, v12, s6, v1
	v_fma_f16 v31, v15, s5, v33
	v_sub_f16_e32 v16, v16, v17
	v_fma_f16 v43, v44, s4, v43
	v_fma_f16 v1, v44, s4, v1
	;; [unrolled: 1-line block ×3, first 2 shown]
	v_sub_f16_e32 v31, v10, v5
	v_sub_f16_e32 v44, v9, v18
	v_fma_f16 v33, v15, s3, v33
	v_add_f16_e32 v31, v31, v44
	v_fma_f16 v33, v16, s2, v33
	v_add_f16_e32 v12, v38, v10
	v_fma_f16 v17, v31, s4, v17
	v_fma_f16 v31, v31, s4, v33
	v_add_f16_e32 v33, v10, v9
	v_add_f16_e32 v12, v12, v5
	v_fma_f16 v33, v33, -0.5, v38
	v_add_f16_e32 v12, v12, v18
	v_fma_f16 v38, v16, s3, v33
	v_sub_f16_e32 v5, v5, v10
	v_fma_f16 v10, v16, s5, v33
	v_add_f16_e32 v12, v12, v9
	v_fma_f16 v38, v15, s6, v38
	v_sub_f16_e32 v9, v18, v9
	v_fma_f16 v10, v15, s2, v10
	v_add_f16_e32 v15, v20, v21
	v_add_f16_e32 v5, v5, v9
	v_fma_f16 v15, v15, -0.5, v2
	v_sub_f16_e32 v16, v11, v23
	v_fma_f16 v9, v5, s4, v38
	v_fma_f16 v18, v16, s3, v15
	v_sub_f16_e32 v33, v6, v22
	v_sub_f16_e32 v38, v19, v20
	;; [unrolled: 1-line block ×3, first 2 shown]
	v_fma_f16 v15, v16, s5, v15
	v_fma_f16 v18, v33, s2, v18
	v_add_f16_e32 v38, v38, v44
	v_fma_f16 v15, v33, s6, v15
	v_fma_f16 v18, v38, s4, v18
	;; [unrolled: 1-line block ×3, first 2 shown]
	v_add_f16_e32 v38, v19, v32
	v_lshrrev_b32_e32 v46, 16, v2
	v_fma_f16 v5, v5, s4, v10
	v_add_f16_e32 v10, v2, v19
	v_fma_f16 v2, v38, -0.5, v2
	v_add_f16_e32 v10, v10, v20
	v_fma_f16 v38, v33, s5, v2
	v_fma_f16 v2, v33, s3, v2
	v_add_f16_e32 v33, v6, v22
	v_add_f16_e32 v10, v10, v21
	v_sub_f16_e32 v44, v20, v19
	v_sub_f16_e32 v45, v21, v32
	v_fma_f16 v33, v33, -0.5, v46
	v_sub_f16_e32 v19, v19, v32
	v_add_f16_e32 v10, v10, v32
	v_fma_f16 v38, v16, s2, v38
	v_add_f16_e32 v44, v44, v45
	v_fma_f16 v2, v16, s6, v2
	v_fma_f16 v32, v19, s5, v33
	v_sub_f16_e32 v20, v20, v21
	v_fma_f16 v38, v44, s4, v38
	v_fma_f16 v2, v44, s4, v2
	;; [unrolled: 1-line block ×3, first 2 shown]
	v_sub_f16_e32 v32, v11, v6
	v_sub_f16_e32 v44, v23, v22
	v_fma_f16 v33, v19, s3, v33
	v_add_f16_e32 v32, v32, v44
	v_fma_f16 v33, v20, s2, v33
	v_add_f16_e32 v16, v46, v11
	v_fma_f16 v21, v32, s4, v21
	v_fma_f16 v32, v32, s4, v33
	v_add_f16_e32 v33, v11, v23
	v_add_f16_e32 v16, v16, v6
	v_fma_f16 v33, v33, -0.5, v46
	v_add_f16_e32 v16, v16, v22
	v_fma_f16 v44, v20, s3, v33
	v_sub_f16_e32 v6, v6, v11
	v_sub_f16_e32 v11, v22, v23
	v_fma_f16 v20, v20, s5, v33
	v_pack_b32_f16 v4, v40, v4
	v_pack_b32_f16 v9, v43, v9
	v_add_f16_e32 v16, v16, v23
	v_fma_f16 v44, v19, s6, v44
	v_add_f16_e32 v6, v6, v11
	v_fma_f16 v19, v19, s2, v20
	v_pack_b32_f16 v0, v0, v3
	v_pack_b32_f16 v3, v35, v39
	ds_write2_b32 v28, v4, v9 offset0:20 offset1:130
	v_pack_b32_f16 v4, v8, v31
	v_fma_f16 v11, v6, s4, v44
	v_fma_f16 v6, v6, s4, v19
	v_pack_b32_f16 v19, v34, v36
	v_pack_b32_f16 v13, v37, v13
	;; [unrolled: 1-line block ×3, first 2 shown]
	ds_write2_b32 v27, v3, v4 offset0:40 offset1:150
	v_pack_b32_f16 v3, v10, v16
	ds_write2_b32 v57, v19, v7 offset1:110
	v_pack_b32_f16 v7, v14, v17
	ds_write2_b32 v41, v3, v13 offset0:92 offset1:202
	v_pack_b32_f16 v3, v18, v21
	ds_write2_b32 v29, v7, v3 offset0:56 offset1:166
	v_pack_b32_f16 v3, v38, v11
	v_pack_b32_f16 v1, v1, v5
	ds_write2_b32 v42, v3, v0 offset0:112 offset1:222
	v_pack_b32_f16 v0, v2, v6
	ds_write2_b32 v30, v1, v0 offset0:76 offset1:186
	v_pack_b32_f16 v0, v15, v32
	ds_write_b32 v57, v0 offset:6160
	s_waitcnt lgkmcnt(0)
	s_barrier
	ds_read2_b32 v[0:1], v57 offset1:150
	s_mov_b32 s6, 0x3dc013dc
	s_mov_b32 s7, 0x3f43dc01
	v_mad_u64_u32 v[3:4], s[2:3], s10, v26, 0
	s_waitcnt lgkmcnt(0)
	v_lshrrev_b32_e32 v9, 16, v0
	v_mul_f16_sdwa v2, v69, v9 dst_sel:DWORD dst_unused:UNUSED_PAD src0_sel:WORD_1 src1_sel:DWORD
	v_fma_f16 v2, v69, v0, v2
	v_cvt_f32_f16_e32 v2, v2
	s_movk_i32 s17, 0x1ff
	s_movk_i32 s12, 0xffe
	v_mul_f16_sdwa v0, v69, v0 dst_sel:DWORD dst_unused:UNUSED_PAD src0_sel:WORD_1 src1_sel:DWORD
	v_cvt_f64_f32_e32 v[5:6], v2
	v_mov_b32_e32 v2, v4
	v_mad_u64_u32 v[7:8], s[2:3], s11, v26, v[2:3]
	v_mul_f64 v[5:6], v[5:6], s[6:7]
	v_fma_f16 v0, v69, v9, -v0
	v_mov_b32_e32 v4, v7
	v_cvt_f32_f16_e32 v0, v0
	s_movk_i32 s13, 0x40f
	s_mov_b32 s16, 0x8000
	v_lshlrev_b64 v[3:4], 2, v[3:4]
	s_movk_i32 s18, 0x1000
	v_and_or_b32 v2, v6, s17, v5
	v_cmp_ne_u32_e32 vcc, 0, v2
	v_cndmask_b32_e64 v2, 0, 1, vcc
	v_lshrrev_b32_e32 v5, 8, v6
	v_bfe_u32 v7, v6, 20, 11
	v_and_or_b32 v5, v5, s12, v2
	v_sub_u32_e32 v8, 0x3f1, v7
	v_or_b32_e32 v2, 0x1000, v5
	v_med3_i32 v8, v8, 0, 13
	v_lshrrev_b32_e32 v10, v8, v2
	v_lshlrev_b32_e32 v8, v8, v10
	v_cmp_ne_u32_e32 vcc, v8, v2
	v_cndmask_b32_e64 v2, 0, 1, vcc
	v_or_b32_e32 v2, v10, v2
	v_add_u32_e32 v10, 0xfffffc10, v7
	v_lshl_or_b32 v7, v10, 12, v5
	v_cmp_gt_i32_e32 vcc, 1, v10
	v_cndmask_b32_e32 v2, v7, v2, vcc
	v_and_b32_e32 v7, 7, v2
	v_cmp_lt_i32_e32 vcc, 5, v7
	v_cmp_eq_u32_e64 s[2:3], 3, v7
	v_cvt_f64_f32_e32 v[7:8], v0
	v_lshrrev_b32_e32 v2, 2, v2
	s_or_b64 vcc, s[2:3], vcc
	v_addc_co_u32_e32 v9, vcc, 0, v2, vcc
	v_mul_f64 v[7:8], v[7:8], s[6:7]
	v_mov_b32_e32 v2, 0x7c00
	v_cmp_gt_i32_e32 vcc, 31, v10
	v_cndmask_b32_e32 v0, v2, v9, vcc
	v_cmp_ne_u32_e32 vcc, 0, v5
	v_cndmask_b32_e64 v5, 0, 1, vcc
	v_lshl_or_b32 v5, v5, 9, v2
	v_cmp_eq_u32_e32 vcc, s13, v10
	v_cndmask_b32_e32 v0, v0, v5, vcc
	v_lshrrev_b32_e32 v5, 16, v6
	v_and_or_b32 v9, v5, s16, v0
	v_and_or_b32 v0, v8, s17, v7
	v_cmp_ne_u32_e32 vcc, 0, v0
	v_cndmask_b32_e64 v0, 0, 1, vcc
	v_lshrrev_b32_e32 v5, 8, v8
	v_bfe_u32 v6, v8, 20, 11
	v_and_or_b32 v0, v5, s12, v0
	v_sub_u32_e32 v7, 0x3f1, v6
	v_or_b32_e32 v5, 0x1000, v0
	v_med3_i32 v7, v7, 0, 13
	v_lshrrev_b32_e32 v10, v7, v5
	v_lshlrev_b32_e32 v7, v7, v10
	v_cmp_ne_u32_e32 vcc, v7, v5
	v_cndmask_b32_e64 v5, 0, 1, vcc
	v_add_u32_e32 v7, 0xfffffc10, v6
	v_or_b32_e32 v5, v10, v5
	v_lshl_or_b32 v6, v7, 12, v0
	v_cmp_gt_i32_e32 vcc, 1, v7
	v_cndmask_b32_e32 v5, v6, v5, vcc
	v_and_b32_e32 v6, 7, v5
	v_cmp_lt_i32_e32 vcc, 5, v6
	v_cmp_eq_u32_e64 s[2:3], 3, v6
	v_lshrrev_b32_e32 v5, 2, v5
	s_or_b64 vcc, s[2:3], vcc
	v_addc_co_u32_e32 v5, vcc, 0, v5, vcc
	v_cmp_gt_i32_e32 vcc, 31, v7
	v_cndmask_b32_e32 v10, v2, v5, vcc
	v_mad_u64_u32 v[5:6], s[2:3], s8, v68, 0
	v_cmp_ne_u32_e32 vcc, 0, v0
	v_cndmask_b32_e64 v0, 0, 1, vcc
	v_lshl_or_b32 v0, v0, 9, v2
	v_cmp_eq_u32_e32 vcc, s13, v7
	v_cndmask_b32_e32 v10, v10, v0, vcc
	v_mov_b32_e32 v0, v6
	v_mad_u64_u32 v[6:7], s[2:3], s9, v68, v[0:1]
	v_lshrrev_b32_e32 v0, 16, v1
	v_mul_f16_sdwa v7, v67, v0 dst_sel:DWORD dst_unused:UNUSED_PAD src0_sel:WORD_1 src1_sel:DWORD
	v_fma_f16 v7, v67, v1, v7
	v_cvt_f32_f16_e32 v7, v7
	v_lshrrev_b32_e32 v8, 16, v8
	v_and_or_b32 v10, v8, s16, v10
	v_and_b32_e32 v9, 0xffff, v9
	v_cvt_f64_f32_e32 v[7:8], v7
	v_lshl_or_b32 v9, v10, 16, v9
	v_mov_b32_e32 v10, s15
	v_add_co_u32_e32 v11, vcc, s14, v3
	v_mul_f64 v[7:8], v[7:8], s[6:7]
	v_addc_co_u32_e32 v10, vcc, v10, v4, vcc
	v_lshlrev_b64 v[3:4], 2, v[5:6]
	v_mul_f16_sdwa v1, v67, v1 dst_sel:DWORD dst_unused:UNUSED_PAD src0_sel:WORD_1 src1_sel:DWORD
	v_add_co_u32_e32 v3, vcc, v11, v3
	v_addc_co_u32_e32 v4, vcc, v10, v4, vcc
	v_and_or_b32 v5, v8, s17, v7
	v_cmp_ne_u32_e32 vcc, 0, v5
	v_fma_f16 v0, v67, v0, -v1
	v_cndmask_b32_e64 v5, 0, 1, vcc
	v_lshrrev_b32_e32 v6, 8, v8
	v_bfe_u32 v7, v8, 20, 11
	v_cvt_f32_f16_e32 v0, v0
	global_store_dword v[3:4], v9, off
	v_and_or_b32 v5, v6, s12, v5
	v_sub_u32_e32 v9, 0x3f1, v7
	v_or_b32_e32 v6, 0x1000, v5
	v_med3_i32 v9, v9, 0, 13
	v_lshrrev_b32_e32 v10, v9, v6
	v_lshlrev_b32_e32 v9, v9, v10
	v_cvt_f64_f32_e32 v[0:1], v0
	v_cmp_ne_u32_e32 vcc, v9, v6
	v_cndmask_b32_e64 v6, 0, 1, vcc
	v_add_u32_e32 v7, 0xfffffc10, v7
	v_or_b32_e32 v6, v10, v6
	v_lshl_or_b32 v9, v7, 12, v5
	v_cmp_gt_i32_e32 vcc, 1, v7
	v_cndmask_b32_e32 v6, v9, v6, vcc
	v_mul_f64 v[0:1], v[0:1], s[6:7]
	v_and_b32_e32 v9, 7, v6
	v_cmp_lt_i32_e32 vcc, 5, v9
	v_cmp_eq_u32_e64 s[2:3], 3, v9
	v_lshrrev_b32_e32 v6, 2, v6
	s_or_b64 vcc, s[2:3], vcc
	v_addc_co_u32_e32 v6, vcc, 0, v6, vcc
	v_cmp_gt_i32_e32 vcc, 31, v7
	v_cndmask_b32_e32 v6, v2, v6, vcc
	v_cmp_ne_u32_e32 vcc, 0, v5
	v_cndmask_b32_e64 v5, 0, 1, vcc
	v_lshl_or_b32 v5, v5, 9, v2
	v_cmp_eq_u32_e32 vcc, s13, v7
	v_and_or_b32 v0, v1, s17, v0
	v_cndmask_b32_e32 v5, v6, v5, vcc
	v_lshrrev_b32_e32 v6, 16, v8
	v_cmp_ne_u32_e32 vcc, 0, v0
	v_and_or_b32 v7, v6, s16, v5
	v_cndmask_b32_e64 v0, 0, 1, vcc
	v_lshrrev_b32_e32 v5, 8, v1
	v_bfe_u32 v6, v1, 20, 11
	v_and_or_b32 v0, v5, s12, v0
	v_sub_u32_e32 v8, 0x3f1, v6
	v_or_b32_e32 v5, 0x1000, v0
	v_med3_i32 v8, v8, 0, 13
	v_lshrrev_b32_e32 v9, v8, v5
	v_lshlrev_b32_e32 v8, v8, v9
	v_cmp_ne_u32_e32 vcc, v8, v5
	v_cndmask_b32_e64 v5, 0, 1, vcc
	v_add_u32_e32 v8, 0xfffffc10, v6
	v_or_b32_e32 v5, v9, v5
	v_lshl_or_b32 v6, v8, 12, v0
	v_cmp_gt_i32_e32 vcc, 1, v8
	v_cndmask_b32_e32 v5, v6, v5, vcc
	v_and_b32_e32 v6, 7, v5
	v_cmp_lt_i32_e32 vcc, 5, v6
	v_cmp_eq_u32_e64 s[2:3], 3, v6
	v_lshrrev_b32_e32 v5, 2, v5
	s_or_b64 vcc, s[2:3], vcc
	v_addc_co_u32_e32 v5, vcc, 0, v5, vcc
	v_cmp_gt_i32_e32 vcc, 31, v8
	v_cndmask_b32_e32 v9, v2, v5, vcc
	v_add_u32_e32 v5, 0x400, v57
	ds_read2_b32 v[5:6], v5 offset0:44 offset1:194
	v_cmp_ne_u32_e32 vcc, 0, v0
	v_cndmask_b32_e64 v0, 0, 1, vcc
	v_lshl_or_b32 v0, v0, 9, v2
	v_cmp_eq_u32_e32 vcc, s13, v8
	v_cndmask_b32_e32 v0, v9, v0, vcc
	v_lshrrev_b32_e32 v1, 16, v1
	s_waitcnt lgkmcnt(0)
	v_lshrrev_b32_e32 v9, 16, v5
	v_and_or_b32 v8, v1, s16, v0
	v_mul_f16_sdwa v0, v66, v9 dst_sel:DWORD dst_unused:UNUSED_PAD src0_sel:WORD_1 src1_sel:DWORD
	v_fma_f16 v0, v66, v5, v0
	v_cvt_f32_f16_e32 v0, v0
	v_and_b32_e32 v7, 0xffff, v7
	v_lshl_or_b32 v10, v8, 16, v7
	s_mul_i32 s2, s9, 0x96
	v_cvt_f64_f32_e32 v[0:1], v0
	s_mul_hi_u32 s3, s8, 0x96
	s_add_i32 s3, s3, s2
	s_mul_i32 s2, s8, 0x96
	v_mul_f64 v[7:8], v[0:1], s[6:7]
	s_lshl_b64 s[10:11], s[2:3], 2
	v_mov_b32_e32 v1, s11
	v_add_co_u32_e32 v3, vcc, s10, v3
	v_addc_co_u32_e32 v4, vcc, v4, v1, vcc
	global_store_dword v[3:4], v10, off
	v_and_or_b32 v0, v8, s17, v7
	v_cmp_ne_u32_e32 vcc, 0, v0
	v_cndmask_b32_e64 v0, 0, 1, vcc
	v_lshrrev_b32_e32 v7, 8, v8
	v_bfe_u32 v10, v8, 20, 11
	v_and_or_b32 v0, v7, s12, v0
	v_sub_u32_e32 v11, 0x3f1, v10
	v_or_b32_e32 v7, 0x1000, v0
	v_med3_i32 v11, v11, 0, 13
	v_lshrrev_b32_e32 v12, v11, v7
	v_lshlrev_b32_e32 v11, v11, v12
	v_mul_f16_sdwa v5, v66, v5 dst_sel:DWORD dst_unused:UNUSED_PAD src0_sel:WORD_1 src1_sel:DWORD
	v_cmp_ne_u32_e32 vcc, v11, v7
	v_fma_f16 v5, v66, v9, -v5
	v_cndmask_b32_e64 v7, 0, 1, vcc
	v_add_u32_e32 v11, 0xfffffc10, v10
	v_cvt_f32_f16_e32 v5, v5
	v_or_b32_e32 v7, v12, v7
	v_lshl_or_b32 v10, v11, 12, v0
	v_cmp_gt_i32_e32 vcc, 1, v11
	v_cndmask_b32_e32 v7, v10, v7, vcc
	v_and_b32_e32 v10, 7, v7
	v_cmp_lt_i32_e32 vcc, 5, v10
	v_cmp_eq_u32_e64 s[2:3], 3, v10
	v_cvt_f64_f32_e32 v[9:10], v5
	v_lshrrev_b32_e32 v7, 2, v7
	s_or_b64 vcc, s[2:3], vcc
	v_addc_co_u32_e32 v5, vcc, 0, v7, vcc
	v_mul_f64 v[9:10], v[9:10], s[6:7]
	v_cmp_gt_i32_e32 vcc, 31, v11
	v_cndmask_b32_e32 v5, v2, v5, vcc
	v_cmp_ne_u32_e32 vcc, 0, v0
	v_cndmask_b32_e64 v0, 0, 1, vcc
	v_lshl_or_b32 v0, v0, 9, v2
	v_cmp_eq_u32_e32 vcc, s13, v11
	v_cndmask_b32_e32 v0, v5, v0, vcc
	v_lshrrev_b32_e32 v5, 16, v8
	v_and_or_b32 v0, v5, s16, v0
	v_and_or_b32 v5, v10, s17, v9
	v_cmp_ne_u32_e32 vcc, 0, v5
	v_cndmask_b32_e64 v5, 0, 1, vcc
	v_lshrrev_b32_e32 v7, 8, v10
	v_bfe_u32 v8, v10, 20, 11
	v_and_or_b32 v5, v7, s12, v5
	v_sub_u32_e32 v9, 0x3f1, v8
	v_or_b32_e32 v7, 0x1000, v5
	v_med3_i32 v9, v9, 0, 13
	v_lshrrev_b32_e32 v11, v9, v7
	v_lshlrev_b32_e32 v9, v9, v11
	v_cmp_ne_u32_e32 vcc, v9, v7
	v_cndmask_b32_e64 v7, 0, 1, vcc
	v_add_u32_e32 v9, 0xfffffc10, v8
	v_or_b32_e32 v7, v11, v7
	v_lshl_or_b32 v8, v9, 12, v5
	v_cmp_gt_i32_e32 vcc, 1, v9
	v_cndmask_b32_e32 v7, v8, v7, vcc
	v_and_b32_e32 v8, 7, v7
	v_cmp_lt_i32_e32 vcc, 5, v8
	v_cmp_eq_u32_e64 s[2:3], 3, v8
	v_lshrrev_b32_e32 v7, 2, v7
	s_or_b64 vcc, s[2:3], vcc
	v_addc_co_u32_e32 v7, vcc, 0, v7, vcc
	v_cmp_gt_i32_e32 vcc, 31, v9
	v_lshrrev_b32_e32 v12, 16, v6
	v_cndmask_b32_e32 v11, v2, v7, vcc
	v_mul_f16_sdwa v7, v65, v12 dst_sel:DWORD dst_unused:UNUSED_PAD src0_sel:WORD_1 src1_sel:DWORD
	v_fma_f16 v7, v65, v6, v7
	v_cvt_f32_f16_e32 v7, v7
	v_cmp_ne_u32_e32 vcc, 0, v5
	v_cndmask_b32_e64 v5, 0, 1, vcc
	v_lshl_or_b32 v5, v5, 9, v2
	v_cvt_f64_f32_e32 v[7:8], v7
	v_cmp_eq_u32_e32 vcc, s13, v9
	v_cndmask_b32_e32 v5, v11, v5, vcc
	v_lshrrev_b32_e32 v9, 16, v10
	v_mul_f64 v[7:8], v[7:8], s[6:7]
	v_and_or_b32 v5, v9, s16, v5
	v_and_b32_e32 v0, 0xffff, v0
	v_add_co_u32_e32 v3, vcc, s10, v3
	v_lshl_or_b32 v0, v5, 16, v0
	v_addc_co_u32_e32 v4, vcc, v4, v1, vcc
	global_store_dword v[3:4], v0, off
	v_and_or_b32 v0, v8, s17, v7
	v_cmp_ne_u32_e32 vcc, 0, v0
	v_cndmask_b32_e64 v0, 0, 1, vcc
	v_lshrrev_b32_e32 v5, 8, v8
	v_bfe_u32 v7, v8, 20, 11
	v_and_or_b32 v0, v5, s12, v0
	v_sub_u32_e32 v9, 0x3f1, v7
	v_or_b32_e32 v5, 0x1000, v0
	v_med3_i32 v9, v9, 0, 13
	v_lshrrev_b32_e32 v10, v9, v5
	v_lshlrev_b32_e32 v9, v9, v10
	v_mul_f16_sdwa v6, v65, v6 dst_sel:DWORD dst_unused:UNUSED_PAD src0_sel:WORD_1 src1_sel:DWORD
	v_cmp_ne_u32_e32 vcc, v9, v5
	v_fma_f16 v6, v65, v12, -v6
	v_cndmask_b32_e64 v5, 0, 1, vcc
	v_add_u32_e32 v7, 0xfffffc10, v7
	v_cvt_f32_f16_e32 v6, v6
	v_or_b32_e32 v5, v10, v5
	v_lshl_or_b32 v9, v7, 12, v0
	v_cmp_gt_i32_e32 vcc, 1, v7
	v_cndmask_b32_e32 v5, v9, v5, vcc
	v_and_b32_e32 v9, 7, v5
	v_cmp_lt_i32_e32 vcc, 5, v9
	v_cmp_eq_u32_e64 s[2:3], 3, v9
	v_lshrrev_b32_e32 v9, 2, v5
	v_cvt_f64_f32_e32 v[5:6], v6
	s_or_b64 vcc, s[2:3], vcc
	v_addc_co_u32_e32 v9, vcc, 0, v9, vcc
	v_mul_f64 v[5:6], v[5:6], s[6:7]
	v_cmp_gt_i32_e32 vcc, 31, v7
	v_cndmask_b32_e32 v9, v2, v9, vcc
	v_cmp_ne_u32_e32 vcc, 0, v0
	v_cndmask_b32_e64 v0, 0, 1, vcc
	v_lshl_or_b32 v0, v0, 9, v2
	v_cmp_eq_u32_e32 vcc, s13, v7
	v_cndmask_b32_e32 v0, v9, v0, vcc
	v_and_or_b32 v5, v6, s17, v5
	v_lshrrev_b32_e32 v7, 16, v8
	v_cmp_ne_u32_e32 vcc, 0, v5
	v_and_or_b32 v0, v7, s16, v0
	v_cndmask_b32_e64 v5, 0, 1, vcc
	v_lshrrev_b32_e32 v7, 8, v6
	v_bfe_u32 v8, v6, 20, 11
	v_and_or_b32 v5, v7, s12, v5
	v_sub_u32_e32 v9, 0x3f1, v8
	v_or_b32_e32 v7, 0x1000, v5
	v_med3_i32 v9, v9, 0, 13
	v_lshrrev_b32_e32 v10, v9, v7
	v_lshlrev_b32_e32 v9, v9, v10
	v_cmp_ne_u32_e32 vcc, v9, v7
	v_cndmask_b32_e64 v7, 0, 1, vcc
	v_add_u32_e32 v11, 0xfffffc10, v8
	v_or_b32_e32 v7, v10, v7
	v_lshl_or_b32 v8, v11, 12, v5
	v_cmp_gt_i32_e32 vcc, 1, v11
	v_cndmask_b32_e32 v7, v8, v7, vcc
	v_and_b32_e32 v8, 7, v7
	v_lshrrev_b32_e32 v9, 2, v7
	v_add_u32_e32 v7, 0x800, v57
	v_cmp_lt_i32_e32 vcc, 5, v8
	v_cmp_eq_u32_e64 s[2:3], 3, v8
	ds_read2_b32 v[7:8], v7 offset0:88 offset1:238
	s_or_b64 vcc, s[2:3], vcc
	v_addc_co_u32_e32 v9, vcc, 0, v9, vcc
	v_cmp_gt_i32_e32 vcc, 31, v11
	s_waitcnt lgkmcnt(0)
	v_lshrrev_b32_e32 v13, 16, v7
	v_cndmask_b32_e32 v12, v2, v9, vcc
	v_mul_f16_sdwa v9, v64, v13 dst_sel:DWORD dst_unused:UNUSED_PAD src0_sel:WORD_1 src1_sel:DWORD
	v_fma_f16 v9, v64, v7, v9
	v_cvt_f32_f16_e32 v9, v9
	v_cmp_ne_u32_e32 vcc, 0, v5
	v_cndmask_b32_e64 v5, 0, 1, vcc
	v_lshl_or_b32 v5, v5, 9, v2
	v_cvt_f64_f32_e32 v[9:10], v9
	v_cmp_eq_u32_e32 vcc, s13, v11
	v_cndmask_b32_e32 v5, v12, v5, vcc
	v_lshrrev_b32_e32 v6, 16, v6
	v_and_or_b32 v11, v6, s16, v5
	v_mul_f64 v[5:6], v[9:10], s[6:7]
	v_and_b32_e32 v0, 0xffff, v0
	v_add_co_u32_e32 v3, vcc, s10, v3
	v_lshl_or_b32 v0, v11, 16, v0
	v_addc_co_u32_e32 v4, vcc, v4, v1, vcc
	global_store_dword v[3:4], v0, off
	v_and_or_b32 v0, v6, s17, v5
	v_cmp_ne_u32_e32 vcc, 0, v0
	v_cndmask_b32_e64 v0, 0, 1, vcc
	v_lshrrev_b32_e32 v5, 8, v6
	v_bfe_u32 v9, v6, 20, 11
	v_and_or_b32 v0, v5, s12, v0
	v_sub_u32_e32 v10, 0x3f1, v9
	v_or_b32_e32 v5, 0x1000, v0
	v_med3_i32 v10, v10, 0, 13
	v_lshrrev_b32_e32 v11, v10, v5
	v_lshlrev_b32_e32 v10, v10, v11
	v_cmp_ne_u32_e32 vcc, v10, v5
	v_mul_f16_sdwa v7, v64, v7 dst_sel:DWORD dst_unused:UNUSED_PAD src0_sel:WORD_1 src1_sel:DWORD
	v_cndmask_b32_e64 v5, 0, 1, vcc
	v_fma_f16 v7, v64, v13, -v7
	v_or_b32_e32 v5, v11, v5
	v_add_u32_e32 v11, 0xfffffc10, v9
	v_cvt_f32_f16_e32 v7, v7
	v_lshl_or_b32 v9, v11, 12, v0
	v_cmp_gt_i32_e32 vcc, 1, v11
	v_cndmask_b32_e32 v5, v9, v5, vcc
	v_and_b32_e32 v9, 7, v5
	v_cmp_lt_i32_e32 vcc, 5, v9
	v_cmp_eq_u32_e64 s[2:3], 3, v9
	v_cvt_f64_f32_e32 v[9:10], v7
	v_lshrrev_b32_e32 v5, 2, v5
	s_or_b64 vcc, s[2:3], vcc
	v_addc_co_u32_e32 v5, vcc, 0, v5, vcc
	v_mul_f64 v[9:10], v[9:10], s[6:7]
	v_cmp_gt_i32_e32 vcc, 31, v11
	v_cndmask_b32_e32 v5, v2, v5, vcc
	v_cmp_ne_u32_e32 vcc, 0, v0
	v_cndmask_b32_e64 v0, 0, 1, vcc
	v_lshl_or_b32 v0, v0, 9, v2
	v_cmp_eq_u32_e32 vcc, s13, v11
	v_cndmask_b32_e32 v0, v5, v0, vcc
	v_lshrrev_b32_e32 v5, 16, v6
	v_and_or_b32 v0, v5, s16, v0
	v_and_or_b32 v5, v10, s17, v9
	v_cmp_ne_u32_e32 vcc, 0, v5
	v_cndmask_b32_e64 v5, 0, 1, vcc
	v_lshrrev_b32_e32 v6, 8, v10
	v_bfe_u32 v7, v10, 20, 11
	v_and_or_b32 v5, v6, s12, v5
	v_sub_u32_e32 v9, 0x3f1, v7
	v_or_b32_e32 v6, 0x1000, v5
	v_med3_i32 v9, v9, 0, 13
	v_lshrrev_b32_e32 v11, v9, v6
	v_lshlrev_b32_e32 v9, v9, v11
	v_cmp_ne_u32_e32 vcc, v9, v6
	v_cndmask_b32_e64 v6, 0, 1, vcc
	v_add_u32_e32 v7, 0xfffffc10, v7
	v_or_b32_e32 v6, v11, v6
	v_lshl_or_b32 v9, v7, 12, v5
	v_cmp_gt_i32_e32 vcc, 1, v7
	v_cndmask_b32_e32 v6, v9, v6, vcc
	v_and_b32_e32 v9, 7, v6
	v_cmp_lt_i32_e32 vcc, 5, v9
	v_cmp_eq_u32_e64 s[2:3], 3, v9
	v_lshrrev_b32_e32 v6, 2, v6
	s_or_b64 vcc, s[2:3], vcc
	v_addc_co_u32_e32 v6, vcc, 0, v6, vcc
	v_cmp_gt_i32_e32 vcc, 31, v7
	v_lshrrev_b32_e32 v11, 16, v8
	v_cndmask_b32_e32 v9, v2, v6, vcc
	v_mul_f16_sdwa v6, v63, v11 dst_sel:DWORD dst_unused:UNUSED_PAD src0_sel:WORD_1 src1_sel:DWORD
	v_fma_f16 v6, v63, v8, v6
	v_cvt_f32_f16_e32 v6, v6
	v_cmp_ne_u32_e32 vcc, 0, v5
	v_cndmask_b32_e64 v5, 0, 1, vcc
	v_lshl_or_b32 v12, v5, 9, v2
	v_cvt_f64_f32_e32 v[5:6], v6
	v_cmp_eq_u32_e32 vcc, s13, v7
	v_cndmask_b32_e32 v7, v9, v12, vcc
	v_lshrrev_b32_e32 v9, 16, v10
	v_mul_f64 v[5:6], v[5:6], s[6:7]
	v_and_or_b32 v7, v9, s16, v7
	v_and_b32_e32 v0, 0xffff, v0
	v_add_co_u32_e32 v3, vcc, s10, v3
	v_lshl_or_b32 v0, v7, 16, v0
	v_addc_co_u32_e32 v4, vcc, v4, v1, vcc
	global_store_dword v[3:4], v0, off
	v_and_or_b32 v0, v6, s17, v5
	v_cmp_ne_u32_e32 vcc, 0, v0
	v_cndmask_b32_e64 v0, 0, 1, vcc
	v_lshrrev_b32_e32 v5, 8, v6
	v_bfe_u32 v7, v6, 20, 11
	v_and_or_b32 v0, v5, s12, v0
	v_sub_u32_e32 v9, 0x3f1, v7
	v_or_b32_e32 v5, 0x1000, v0
	v_med3_i32 v9, v9, 0, 13
	v_lshrrev_b32_e32 v10, v9, v5
	v_lshlrev_b32_e32 v9, v9, v10
	v_mul_f16_sdwa v8, v63, v8 dst_sel:DWORD dst_unused:UNUSED_PAD src0_sel:WORD_1 src1_sel:DWORD
	v_cmp_ne_u32_e32 vcc, v9, v5
	v_fma_f16 v8, v63, v11, -v8
	v_cndmask_b32_e64 v5, 0, 1, vcc
	v_add_u32_e32 v9, 0xfffffc10, v7
	v_cvt_f32_f16_e32 v8, v8
	v_or_b32_e32 v5, v10, v5
	v_lshl_or_b32 v7, v9, 12, v0
	v_cmp_gt_i32_e32 vcc, 1, v9
	v_cndmask_b32_e32 v5, v7, v5, vcc
	v_and_b32_e32 v7, 7, v5
	v_cmp_lt_i32_e32 vcc, 5, v7
	v_cmp_eq_u32_e64 s[2:3], 3, v7
	v_cvt_f64_f32_e32 v[7:8], v8
	v_lshrrev_b32_e32 v5, 2, v5
	s_or_b64 vcc, s[2:3], vcc
	v_addc_co_u32_e32 v5, vcc, 0, v5, vcc
	v_mul_f64 v[7:8], v[7:8], s[6:7]
	v_cmp_gt_i32_e32 vcc, 31, v9
	v_cndmask_b32_e32 v5, v2, v5, vcc
	v_cmp_ne_u32_e32 vcc, 0, v0
	v_cndmask_b32_e64 v0, 0, 1, vcc
	v_lshl_or_b32 v0, v0, 9, v2
	v_cmp_eq_u32_e32 vcc, s13, v9
	v_cndmask_b32_e32 v0, v5, v0, vcc
	v_lshrrev_b32_e32 v5, 16, v6
	v_and_or_b32 v0, v5, s16, v0
	v_and_or_b32 v5, v8, s17, v7
	v_cmp_ne_u32_e32 vcc, 0, v5
	v_cndmask_b32_e64 v5, 0, 1, vcc
	v_lshrrev_b32_e32 v6, 8, v8
	v_and_or_b32 v7, v6, s12, v5
	v_bfe_u32 v6, v8, 20, 11
	v_sub_u32_e32 v9, 0x3f1, v6
	v_or_b32_e32 v5, 0x1000, v7
	v_med3_i32 v9, v9, 0, 13
	v_lshrrev_b32_e32 v10, v9, v5
	v_lshlrev_b32_e32 v9, v9, v10
	v_cmp_ne_u32_e32 vcc, v9, v5
	v_cndmask_b32_e64 v5, 0, 1, vcc
	v_add_u32_e32 v11, 0xfffffc10, v6
	v_or_b32_e32 v5, v10, v5
	v_lshl_or_b32 v6, v11, 12, v7
	v_cmp_gt_i32_e32 vcc, 1, v11
	v_cndmask_b32_e32 v5, v6, v5, vcc
	v_and_b32_e32 v6, 7, v5
	v_lshrrev_b32_e32 v9, 2, v5
	v_add_u32_e32 v5, 0xe00, v57
	v_cmp_lt_i32_e32 vcc, 5, v6
	v_cmp_eq_u32_e64 s[2:3], 3, v6
	ds_read2_b32 v[5:6], v5 offset0:4 offset1:154
	s_or_b64 vcc, s[2:3], vcc
	v_addc_co_u32_e32 v9, vcc, 0, v9, vcc
	v_cmp_gt_i32_e32 vcc, 31, v11
	s_waitcnt lgkmcnt(0)
	v_lshrrev_b32_e32 v13, 16, v5
	v_cndmask_b32_e32 v12, v2, v9, vcc
	v_mul_f16_sdwa v9, v62, v13 dst_sel:DWORD dst_unused:UNUSED_PAD src0_sel:WORD_1 src1_sel:DWORD
	v_fma_f16 v9, v62, v5, v9
	v_cvt_f32_f16_e32 v9, v9
	v_cmp_ne_u32_e32 vcc, 0, v7
	v_cndmask_b32_e64 v7, 0, 1, vcc
	v_lshl_or_b32 v7, v7, 9, v2
	v_cvt_f64_f32_e32 v[9:10], v9
	v_cmp_eq_u32_e32 vcc, s13, v11
	v_cndmask_b32_e32 v7, v12, v7, vcc
	v_lshrrev_b32_e32 v8, 16, v8
	v_and_or_b32 v11, v8, s16, v7
	v_mul_f64 v[7:8], v[9:10], s[6:7]
	v_and_b32_e32 v0, 0xffff, v0
	v_add_co_u32_e32 v3, vcc, s10, v3
	v_lshl_or_b32 v0, v11, 16, v0
	v_addc_co_u32_e32 v4, vcc, v4, v1, vcc
	global_store_dword v[3:4], v0, off
	v_and_or_b32 v0, v8, s17, v7
	v_cmp_ne_u32_e32 vcc, 0, v0
	v_cndmask_b32_e64 v0, 0, 1, vcc
	v_lshrrev_b32_e32 v7, 8, v8
	v_bfe_u32 v9, v8, 20, 11
	v_and_or_b32 v0, v7, s12, v0
	v_sub_u32_e32 v10, 0x3f1, v9
	v_or_b32_e32 v7, 0x1000, v0
	v_med3_i32 v10, v10, 0, 13
	v_lshrrev_b32_e32 v11, v10, v7
	v_lshlrev_b32_e32 v10, v10, v11
	v_cmp_ne_u32_e32 vcc, v10, v7
	v_mul_f16_sdwa v5, v62, v5 dst_sel:DWORD dst_unused:UNUSED_PAD src0_sel:WORD_1 src1_sel:DWORD
	v_cndmask_b32_e64 v7, 0, 1, vcc
	v_fma_f16 v5, v62, v13, -v5
	v_or_b32_e32 v7, v11, v7
	v_add_u32_e32 v11, 0xfffffc10, v9
	v_cvt_f32_f16_e32 v5, v5
	v_lshl_or_b32 v9, v11, 12, v0
	v_cmp_gt_i32_e32 vcc, 1, v11
	v_cndmask_b32_e32 v7, v9, v7, vcc
	v_and_b32_e32 v9, 7, v7
	v_cmp_lt_i32_e32 vcc, 5, v9
	v_cmp_eq_u32_e64 s[2:3], 3, v9
	v_cvt_f64_f32_e32 v[9:10], v5
	v_lshrrev_b32_e32 v7, 2, v7
	s_or_b64 vcc, s[2:3], vcc
	v_addc_co_u32_e32 v5, vcc, 0, v7, vcc
	v_mul_f64 v[9:10], v[9:10], s[6:7]
	v_cmp_gt_i32_e32 vcc, 31, v11
	v_cndmask_b32_e32 v5, v2, v5, vcc
	v_cmp_ne_u32_e32 vcc, 0, v0
	v_cndmask_b32_e64 v0, 0, 1, vcc
	v_lshl_or_b32 v0, v0, 9, v2
	v_cmp_eq_u32_e32 vcc, s13, v11
	v_cndmask_b32_e32 v0, v5, v0, vcc
	v_lshrrev_b32_e32 v5, 16, v8
	v_and_or_b32 v0, v5, s16, v0
	v_and_or_b32 v5, v10, s17, v9
	v_cmp_ne_u32_e32 vcc, 0, v5
	v_cndmask_b32_e64 v5, 0, 1, vcc
	v_lshrrev_b32_e32 v7, 8, v10
	v_bfe_u32 v8, v10, 20, 11
	v_and_or_b32 v5, v7, s12, v5
	v_sub_u32_e32 v9, 0x3f1, v8
	v_or_b32_e32 v7, 0x1000, v5
	v_med3_i32 v9, v9, 0, 13
	v_lshrrev_b32_e32 v11, v9, v7
	v_lshlrev_b32_e32 v9, v9, v11
	v_cmp_ne_u32_e32 vcc, v9, v7
	v_cndmask_b32_e64 v7, 0, 1, vcc
	v_add_u32_e32 v9, 0xfffffc10, v8
	v_or_b32_e32 v7, v11, v7
	v_lshl_or_b32 v8, v9, 12, v5
	v_cmp_gt_i32_e32 vcc, 1, v9
	v_cndmask_b32_e32 v7, v8, v7, vcc
	v_and_b32_e32 v8, 7, v7
	v_cmp_lt_i32_e32 vcc, 5, v8
	v_cmp_eq_u32_e64 s[2:3], 3, v8
	v_lshrrev_b32_e32 v7, 2, v7
	s_or_b64 vcc, s[2:3], vcc
	v_addc_co_u32_e32 v7, vcc, 0, v7, vcc
	v_cmp_gt_i32_e32 vcc, 31, v9
	v_lshrrev_b32_e32 v12, 16, v6
	v_cndmask_b32_e32 v11, v2, v7, vcc
	v_mul_f16_sdwa v7, v61, v12 dst_sel:DWORD dst_unused:UNUSED_PAD src0_sel:WORD_1 src1_sel:DWORD
	v_fma_f16 v7, v61, v6, v7
	v_cvt_f32_f16_e32 v7, v7
	v_cmp_ne_u32_e32 vcc, 0, v5
	v_cndmask_b32_e64 v5, 0, 1, vcc
	v_lshl_or_b32 v5, v5, 9, v2
	v_cvt_f64_f32_e32 v[7:8], v7
	v_cmp_eq_u32_e32 vcc, s13, v9
	v_cndmask_b32_e32 v5, v11, v5, vcc
	v_lshrrev_b32_e32 v9, 16, v10
	v_mul_f64 v[7:8], v[7:8], s[6:7]
	v_and_or_b32 v5, v9, s16, v5
	v_and_b32_e32 v0, 0xffff, v0
	v_add_co_u32_e32 v3, vcc, s10, v3
	v_lshl_or_b32 v0, v5, 16, v0
	v_addc_co_u32_e32 v4, vcc, v4, v1, vcc
	global_store_dword v[3:4], v0, off
	v_and_or_b32 v0, v8, s17, v7
	v_cmp_ne_u32_e32 vcc, 0, v0
	v_cndmask_b32_e64 v0, 0, 1, vcc
	v_lshrrev_b32_e32 v5, 8, v8
	v_bfe_u32 v7, v8, 20, 11
	v_and_or_b32 v0, v5, s12, v0
	v_sub_u32_e32 v9, 0x3f1, v7
	v_or_b32_e32 v5, 0x1000, v0
	v_med3_i32 v9, v9, 0, 13
	v_lshrrev_b32_e32 v10, v9, v5
	v_lshlrev_b32_e32 v9, v9, v10
	v_mul_f16_sdwa v6, v61, v6 dst_sel:DWORD dst_unused:UNUSED_PAD src0_sel:WORD_1 src1_sel:DWORD
	v_cmp_ne_u32_e32 vcc, v9, v5
	v_fma_f16 v6, v61, v12, -v6
	v_cndmask_b32_e64 v5, 0, 1, vcc
	v_add_u32_e32 v7, 0xfffffc10, v7
	v_cvt_f32_f16_e32 v6, v6
	v_or_b32_e32 v5, v10, v5
	v_lshl_or_b32 v9, v7, 12, v0
	v_cmp_gt_i32_e32 vcc, 1, v7
	v_cndmask_b32_e32 v5, v9, v5, vcc
	v_and_b32_e32 v9, 7, v5
	v_cmp_lt_i32_e32 vcc, 5, v9
	v_cmp_eq_u32_e64 s[2:3], 3, v9
	v_lshrrev_b32_e32 v9, 2, v5
	v_cvt_f64_f32_e32 v[5:6], v6
	s_or_b64 vcc, s[2:3], vcc
	v_addc_co_u32_e32 v9, vcc, 0, v9, vcc
	v_mul_f64 v[5:6], v[5:6], s[6:7]
	v_cmp_gt_i32_e32 vcc, 31, v7
	v_cndmask_b32_e32 v9, v2, v9, vcc
	v_cmp_ne_u32_e32 vcc, 0, v0
	v_cndmask_b32_e64 v0, 0, 1, vcc
	v_lshl_or_b32 v0, v0, 9, v2
	v_cmp_eq_u32_e32 vcc, s13, v7
	v_cndmask_b32_e32 v0, v9, v0, vcc
	v_and_or_b32 v5, v6, s17, v5
	v_lshrrev_b32_e32 v7, 16, v8
	v_cmp_ne_u32_e32 vcc, 0, v5
	v_and_or_b32 v0, v7, s16, v0
	v_cndmask_b32_e64 v5, 0, 1, vcc
	v_lshrrev_b32_e32 v7, 8, v6
	v_bfe_u32 v8, v6, 20, 11
	v_and_or_b32 v5, v7, s12, v5
	v_sub_u32_e32 v9, 0x3f1, v8
	v_or_b32_e32 v7, 0x1000, v5
	v_med3_i32 v9, v9, 0, 13
	v_lshrrev_b32_e32 v10, v9, v7
	v_lshlrev_b32_e32 v9, v9, v10
	v_cmp_ne_u32_e32 vcc, v9, v7
	v_cndmask_b32_e64 v7, 0, 1, vcc
	v_add_u32_e32 v11, 0xfffffc10, v8
	v_or_b32_e32 v7, v10, v7
	v_lshl_or_b32 v8, v11, 12, v5
	v_cmp_gt_i32_e32 vcc, 1, v11
	v_cndmask_b32_e32 v7, v8, v7, vcc
	v_and_b32_e32 v8, 7, v7
	v_lshrrev_b32_e32 v9, 2, v7
	v_add_u32_e32 v7, 0x1200, v57
	v_cmp_lt_i32_e32 vcc, 5, v8
	v_cmp_eq_u32_e64 s[2:3], 3, v8
	ds_read2_b32 v[7:8], v7 offset0:48 offset1:198
	s_or_b64 vcc, s[2:3], vcc
	v_addc_co_u32_e32 v9, vcc, 0, v9, vcc
	v_cmp_gt_i32_e32 vcc, 31, v11
	s_waitcnt lgkmcnt(0)
	v_lshrrev_b32_e32 v13, 16, v7
	v_cndmask_b32_e32 v12, v2, v9, vcc
	v_mul_f16_sdwa v9, v60, v13 dst_sel:DWORD dst_unused:UNUSED_PAD src0_sel:WORD_1 src1_sel:DWORD
	v_fma_f16 v9, v60, v7, v9
	v_cvt_f32_f16_e32 v9, v9
	v_cmp_ne_u32_e32 vcc, 0, v5
	v_cndmask_b32_e64 v5, 0, 1, vcc
	v_lshl_or_b32 v5, v5, 9, v2
	v_cvt_f64_f32_e32 v[9:10], v9
	v_cmp_eq_u32_e32 vcc, s13, v11
	v_cndmask_b32_e32 v5, v12, v5, vcc
	v_lshrrev_b32_e32 v6, 16, v6
	v_and_or_b32 v11, v6, s16, v5
	v_mul_f64 v[5:6], v[9:10], s[6:7]
	v_and_b32_e32 v0, 0xffff, v0
	v_add_co_u32_e32 v3, vcc, s10, v3
	v_lshl_or_b32 v0, v11, 16, v0
	v_addc_co_u32_e32 v4, vcc, v4, v1, vcc
	global_store_dword v[3:4], v0, off
	v_and_or_b32 v0, v6, s17, v5
	v_cmp_ne_u32_e32 vcc, 0, v0
	v_cndmask_b32_e64 v0, 0, 1, vcc
	v_lshrrev_b32_e32 v5, 8, v6
	v_bfe_u32 v9, v6, 20, 11
	v_and_or_b32 v0, v5, s12, v0
	v_sub_u32_e32 v10, 0x3f1, v9
	v_or_b32_e32 v5, 0x1000, v0
	v_med3_i32 v10, v10, 0, 13
	v_lshrrev_b32_e32 v11, v10, v5
	v_lshlrev_b32_e32 v10, v10, v11
	v_cmp_ne_u32_e32 vcc, v10, v5
	v_mul_f16_sdwa v7, v60, v7 dst_sel:DWORD dst_unused:UNUSED_PAD src0_sel:WORD_1 src1_sel:DWORD
	v_cndmask_b32_e64 v5, 0, 1, vcc
	v_fma_f16 v7, v60, v13, -v7
	v_or_b32_e32 v5, v11, v5
	v_add_u32_e32 v11, 0xfffffc10, v9
	v_cvt_f32_f16_e32 v7, v7
	v_lshl_or_b32 v9, v11, 12, v0
	v_cmp_gt_i32_e32 vcc, 1, v11
	v_cndmask_b32_e32 v5, v9, v5, vcc
	v_and_b32_e32 v9, 7, v5
	v_cmp_lt_i32_e32 vcc, 5, v9
	v_cmp_eq_u32_e64 s[2:3], 3, v9
	v_cvt_f64_f32_e32 v[9:10], v7
	v_lshrrev_b32_e32 v5, 2, v5
	s_or_b64 vcc, s[2:3], vcc
	v_addc_co_u32_e32 v5, vcc, 0, v5, vcc
	v_mul_f64 v[9:10], v[9:10], s[6:7]
	v_cmp_gt_i32_e32 vcc, 31, v11
	v_cndmask_b32_e32 v5, v2, v5, vcc
	v_cmp_ne_u32_e32 vcc, 0, v0
	v_cndmask_b32_e64 v0, 0, 1, vcc
	v_lshl_or_b32 v0, v0, 9, v2
	v_cmp_eq_u32_e32 vcc, s13, v11
	v_cndmask_b32_e32 v0, v5, v0, vcc
	v_lshrrev_b32_e32 v5, 16, v6
	v_and_or_b32 v0, v5, s16, v0
	v_and_or_b32 v5, v10, s17, v9
	v_cmp_ne_u32_e32 vcc, 0, v5
	v_cndmask_b32_e64 v5, 0, 1, vcc
	v_lshrrev_b32_e32 v6, 8, v10
	v_bfe_u32 v7, v10, 20, 11
	v_and_or_b32 v5, v6, s12, v5
	v_sub_u32_e32 v9, 0x3f1, v7
	v_or_b32_e32 v6, 0x1000, v5
	v_med3_i32 v9, v9, 0, 13
	v_lshrrev_b32_e32 v11, v9, v6
	v_lshlrev_b32_e32 v9, v9, v11
	v_cmp_ne_u32_e32 vcc, v9, v6
	v_cndmask_b32_e64 v6, 0, 1, vcc
	v_add_u32_e32 v7, 0xfffffc10, v7
	v_or_b32_e32 v6, v11, v6
	v_lshl_or_b32 v9, v7, 12, v5
	v_cmp_gt_i32_e32 vcc, 1, v7
	v_cndmask_b32_e32 v6, v9, v6, vcc
	v_and_b32_e32 v9, 7, v6
	v_cmp_lt_i32_e32 vcc, 5, v9
	v_cmp_eq_u32_e64 s[2:3], 3, v9
	v_lshrrev_b32_e32 v6, 2, v6
	s_or_b64 vcc, s[2:3], vcc
	v_addc_co_u32_e32 v6, vcc, 0, v6, vcc
	v_cmp_gt_i32_e32 vcc, 31, v7
	v_lshrrev_b32_e32 v11, 16, v8
	v_cndmask_b32_e32 v9, v2, v6, vcc
	v_mul_f16_sdwa v6, v59, v11 dst_sel:DWORD dst_unused:UNUSED_PAD src0_sel:WORD_1 src1_sel:DWORD
	v_fma_f16 v6, v59, v8, v6
	v_cvt_f32_f16_e32 v6, v6
	v_cmp_ne_u32_e32 vcc, 0, v5
	v_cndmask_b32_e64 v5, 0, 1, vcc
	v_lshl_or_b32 v12, v5, 9, v2
	v_cvt_f64_f32_e32 v[5:6], v6
	v_cmp_eq_u32_e32 vcc, s13, v7
	v_cndmask_b32_e32 v7, v9, v12, vcc
	v_lshrrev_b32_e32 v9, 16, v10
	v_mul_f64 v[5:6], v[5:6], s[6:7]
	v_and_or_b32 v7, v9, s16, v7
	v_and_b32_e32 v0, 0xffff, v0
	v_add_co_u32_e32 v3, vcc, s10, v3
	v_lshl_or_b32 v0, v7, 16, v0
	v_addc_co_u32_e32 v4, vcc, v4, v1, vcc
	global_store_dword v[3:4], v0, off
	v_and_or_b32 v0, v6, s17, v5
	v_cmp_ne_u32_e32 vcc, 0, v0
	v_cndmask_b32_e64 v0, 0, 1, vcc
	v_lshrrev_b32_e32 v5, 8, v6
	v_bfe_u32 v7, v6, 20, 11
	v_and_or_b32 v0, v5, s12, v0
	v_sub_u32_e32 v9, 0x3f1, v7
	v_or_b32_e32 v5, 0x1000, v0
	v_med3_i32 v9, v9, 0, 13
	v_lshrrev_b32_e32 v10, v9, v5
	v_lshlrev_b32_e32 v9, v9, v10
	v_mul_f16_sdwa v8, v59, v8 dst_sel:DWORD dst_unused:UNUSED_PAD src0_sel:WORD_1 src1_sel:DWORD
	v_cmp_ne_u32_e32 vcc, v9, v5
	v_fma_f16 v8, v59, v11, -v8
	v_cndmask_b32_e64 v5, 0, 1, vcc
	v_add_u32_e32 v9, 0xfffffc10, v7
	v_cvt_f32_f16_e32 v8, v8
	v_or_b32_e32 v5, v10, v5
	v_lshl_or_b32 v7, v9, 12, v0
	v_cmp_gt_i32_e32 vcc, 1, v9
	v_cndmask_b32_e32 v5, v7, v5, vcc
	v_and_b32_e32 v7, 7, v5
	v_cmp_lt_i32_e32 vcc, 5, v7
	v_cmp_eq_u32_e64 s[2:3], 3, v7
	v_cvt_f64_f32_e32 v[7:8], v8
	v_lshrrev_b32_e32 v5, 2, v5
	s_or_b64 vcc, s[2:3], vcc
	v_addc_co_u32_e32 v5, vcc, 0, v5, vcc
	v_mul_f64 v[7:8], v[7:8], s[6:7]
	v_cmp_gt_i32_e32 vcc, 31, v9
	v_cndmask_b32_e32 v5, v2, v5, vcc
	v_cmp_ne_u32_e32 vcc, 0, v0
	v_cndmask_b32_e64 v0, 0, 1, vcc
	v_lshl_or_b32 v0, v0, 9, v2
	v_cmp_eq_u32_e32 vcc, s13, v9
	v_cndmask_b32_e32 v0, v5, v0, vcc
	v_lshrrev_b32_e32 v5, 16, v6
	v_and_or_b32 v0, v5, s16, v0
	v_and_or_b32 v5, v8, s17, v7
	v_cmp_ne_u32_e32 vcc, 0, v5
	v_cndmask_b32_e64 v5, 0, 1, vcc
	v_lshrrev_b32_e32 v6, 8, v8
	v_bfe_u32 v7, v8, 20, 11
	v_and_or_b32 v5, v6, s12, v5
	v_sub_u32_e32 v9, 0x3f1, v7
	v_or_b32_e32 v6, 0x1000, v5
	v_med3_i32 v9, v9, 0, 13
	v_lshrrev_b32_e32 v10, v9, v6
	v_lshlrev_b32_e32 v9, v9, v10
	v_cmp_ne_u32_e32 vcc, v9, v6
	v_cndmask_b32_e64 v6, 0, 1, vcc
	v_add_u32_e32 v7, 0xfffffc10, v7
	v_or_b32_e32 v6, v10, v6
	v_lshl_or_b32 v9, v7, 12, v5
	v_cmp_gt_i32_e32 vcc, 1, v7
	v_cndmask_b32_e32 v6, v9, v6, vcc
	v_and_b32_e32 v9, 7, v6
	v_cmp_lt_i32_e32 vcc, 5, v9
	v_cmp_eq_u32_e64 s[2:3], 3, v9
	ds_read_b32 v9, v57 offset:6000
	v_lshrrev_b32_e32 v6, 2, v6
	s_or_b64 vcc, s[2:3], vcc
	v_addc_co_u32_e32 v6, vcc, 0, v6, vcc
	v_cmp_gt_i32_e32 vcc, 31, v7
	s_waitcnt lgkmcnt(0)
	v_lshrrev_b32_e32 v11, 16, v9
	v_cndmask_b32_e32 v10, v2, v6, vcc
	v_mul_f16_sdwa v6, v58, v11 dst_sel:DWORD dst_unused:UNUSED_PAD src0_sel:WORD_1 src1_sel:DWORD
	v_fma_f16 v6, v58, v9, v6
	v_cvt_f32_f16_e32 v6, v6
	v_cmp_ne_u32_e32 vcc, 0, v5
	v_cndmask_b32_e64 v5, 0, 1, vcc
	v_lshl_or_b32 v12, v5, 9, v2
	v_cvt_f64_f32_e32 v[5:6], v6
	v_cmp_eq_u32_e32 vcc, s13, v7
	v_cndmask_b32_e32 v7, v10, v12, vcc
	v_lshrrev_b32_e32 v8, 16, v8
	v_mul_f64 v[5:6], v[5:6], s[6:7]
	v_and_or_b32 v7, v8, s16, v7
	v_and_b32_e32 v0, 0xffff, v0
	v_add_co_u32_e32 v3, vcc, s10, v3
	v_lshl_or_b32 v0, v7, 16, v0
	v_addc_co_u32_e32 v4, vcc, v4, v1, vcc
	global_store_dword v[3:4], v0, off
	v_and_or_b32 v0, v6, s17, v5
	v_cmp_ne_u32_e32 vcc, 0, v0
	v_cndmask_b32_e64 v0, 0, 1, vcc
	v_lshrrev_b32_e32 v5, 8, v6
	v_bfe_u32 v7, v6, 20, 11
	v_and_or_b32 v0, v5, s12, v0
	v_sub_u32_e32 v8, 0x3f1, v7
	v_or_b32_e32 v5, 0x1000, v0
	v_med3_i32 v8, v8, 0, 13
	v_lshrrev_b32_e32 v10, v8, v5
	v_lshlrev_b32_e32 v8, v8, v10
	v_cmp_ne_u32_e32 vcc, v8, v5
	v_mul_f16_sdwa v8, v58, v9 dst_sel:DWORD dst_unused:UNUSED_PAD src0_sel:WORD_1 src1_sel:DWORD
	v_cndmask_b32_e64 v5, 0, 1, vcc
	v_fma_f16 v8, v58, v11, -v8
	v_or_b32_e32 v5, v10, v5
	v_add_u32_e32 v10, 0xfffffc10, v7
	v_cvt_f32_f16_e32 v8, v8
	v_lshl_or_b32 v7, v10, 12, v0
	v_cmp_gt_i32_e32 vcc, 1, v10
	v_cndmask_b32_e32 v5, v7, v5, vcc
	v_and_b32_e32 v7, 7, v5
	v_cmp_lt_i32_e32 vcc, 5, v7
	v_cmp_eq_u32_e64 s[2:3], 3, v7
	v_cvt_f64_f32_e32 v[7:8], v8
	v_lshrrev_b32_e32 v5, 2, v5
	s_or_b64 vcc, s[2:3], vcc
	v_addc_co_u32_e32 v5, vcc, 0, v5, vcc
	v_mul_f64 v[7:8], v[7:8], s[6:7]
	v_cmp_gt_i32_e32 vcc, 31, v10
	v_cndmask_b32_e32 v5, v2, v5, vcc
	v_cmp_ne_u32_e32 vcc, 0, v0
	v_cndmask_b32_e64 v0, 0, 1, vcc
	v_lshl_or_b32 v0, v0, 9, v2
	v_cmp_eq_u32_e32 vcc, s13, v10
	v_cndmask_b32_e32 v0, v5, v0, vcc
	v_lshrrev_b32_e32 v5, 16, v6
	v_and_or_b32 v0, v5, s16, v0
	v_and_or_b32 v5, v8, s17, v7
	v_cmp_ne_u32_e32 vcc, 0, v5
	v_cndmask_b32_e64 v5, 0, 1, vcc
	v_lshrrev_b32_e32 v6, 8, v8
	v_bfe_u32 v7, v8, 20, 11
	v_and_or_b32 v5, v6, s12, v5
	v_sub_u32_e32 v9, 0x3f1, v7
	v_or_b32_e32 v6, 0x1000, v5
	v_med3_i32 v9, v9, 0, 13
	v_lshrrev_b32_e32 v10, v9, v6
	v_lshlrev_b32_e32 v9, v9, v10
	v_cmp_ne_u32_e32 vcc, v9, v6
	v_cndmask_b32_e64 v6, 0, 1, vcc
	v_add_u32_e32 v7, 0xfffffc10, v7
	v_or_b32_e32 v6, v10, v6
	v_lshl_or_b32 v9, v7, 12, v5
	v_cmp_gt_i32_e32 vcc, 1, v7
	v_cndmask_b32_e32 v6, v9, v6, vcc
	v_and_b32_e32 v9, 7, v6
	v_cmp_lt_i32_e32 vcc, 5, v9
	v_cmp_eq_u32_e64 s[2:3], 3, v9
	v_lshrrev_b32_e32 v6, 2, v6
	s_or_b64 vcc, s[2:3], vcc
	v_addc_co_u32_e32 v6, vcc, 0, v6, vcc
	v_cmp_gt_i32_e32 vcc, 31, v7
	v_cndmask_b32_e32 v6, v2, v6, vcc
	v_cmp_ne_u32_e32 vcc, 0, v5
	v_cndmask_b32_e64 v5, 0, 1, vcc
	v_lshl_or_b32 v5, v5, 9, v2
	v_cmp_eq_u32_e32 vcc, s13, v7
	v_cndmask_b32_e32 v5, v6, v5, vcc
	v_lshrrev_b32_e32 v6, 16, v8
	v_and_or_b32 v5, v6, s16, v5
	v_and_b32_e32 v0, 0xffff, v0
	v_lshl_or_b32 v5, v5, 16, v0
	v_add_co_u32_e32 v0, vcc, s10, v3
	v_addc_co_u32_e32 v1, vcc, v4, v1, vcc
	global_store_dword v[0:1], v5, off
	s_and_b64 exec, exec, s[0:1]
	s_cbranch_execz .LBB0_23
; %bb.22:
	global_load_dword v5, v[24:25], off offset:440
	v_add_u32_e32 v3, 0x100, v57
	ds_read2_b32 v[3:4], v3 offset0:46 offset1:196
	s_waitcnt lgkmcnt(0)
	v_lshrrev_b32_e32 v6, 16, v3
	s_waitcnt vmcnt(0)
	v_mul_f16_sdwa v7, v6, v5 dst_sel:DWORD dst_unused:UNUSED_PAD src0_sel:DWORD src1_sel:WORD_1
	v_fma_f16 v7, v3, v5, v7
	v_mul_f16_sdwa v3, v3, v5 dst_sel:DWORD dst_unused:UNUSED_PAD src0_sel:DWORD src1_sel:WORD_1
	v_cvt_f32_f16_e32 v7, v7
	v_fma_f16 v3, v5, v6, -v3
	v_cvt_f32_f16_e32 v3, v3
	v_cvt_f64_f32_e32 v[5:6], v7
	v_cvt_f64_f32_e32 v[7:8], v3
	v_mov_b32_e32 v3, 0xffffea48
	v_mul_f64 v[5:6], v[5:6], s[6:7]
	v_mad_u64_u32 v[0:1], s[0:1], s8, v3, v[0:1]
	v_mul_f64 v[7:8], v[7:8], s[6:7]
	s_mul_i32 s0, s9, 0xffffea48
	s_sub_i32 s0, s0, s8
	v_add_u32_e32 v1, s0, v1
	v_and_or_b32 v3, v6, s17, v5
	v_cmp_ne_u32_e32 vcc, 0, v3
	v_lshrrev_b32_e32 v5, 8, v6
	v_and_or_b32 v7, v8, s17, v7
	v_bfe_u32 v9, v6, 20, 11
	v_cndmask_b32_e64 v3, 0, 1, vcc
	v_cmp_ne_u32_e32 vcc, 0, v7
	v_lshrrev_b32_e32 v10, 8, v8
	v_bfe_u32 v11, v8, 20, 11
	v_sub_u32_e32 v12, 0x3f1, v9
	v_cndmask_b32_e64 v7, 0, 1, vcc
	v_and_or_b32 v3, v5, s12, v3
	v_sub_u32_e32 v13, 0x3f1, v11
	v_med3_i32 v5, v12, 0, 13
	v_and_or_b32 v7, v10, s12, v7
	v_or_b32_e32 v12, 0x1000, v3
	v_add_u32_e32 v9, 0xfffffc10, v9
	v_med3_i32 v10, v13, 0, 13
	v_cmp_ne_u32_e32 vcc, 0, v3
	v_or_b32_e32 v14, 0x1000, v7
	v_lshrrev_b32_e32 v16, v5, v12
	v_add_u32_e32 v11, 0xfffffc10, v11
	v_lshl_or_b32 v13, v9, 12, v3
	v_cndmask_b32_e64 v3, 0, 1, vcc
	v_cmp_ne_u32_e32 vcc, 0, v7
	v_lshrrev_b32_e32 v17, v10, v14
	v_lshlrev_b32_e32 v5, v5, v16
	v_lshl_or_b32 v15, v11, 12, v7
	v_cndmask_b32_e64 v7, 0, 1, vcc
	v_lshlrev_b32_e32 v10, v10, v17
	v_cmp_ne_u32_e32 vcc, v5, v12
	v_cndmask_b32_e64 v5, 0, 1, vcc
	v_cmp_ne_u32_e32 vcc, v10, v14
	v_cndmask_b32_e64 v10, 0, 1, vcc
	v_or_b32_e32 v5, v16, v5
	v_cmp_gt_i32_e32 vcc, 1, v9
	v_cndmask_b32_e32 v5, v13, v5, vcc
	v_or_b32_e32 v10, v17, v10
	v_cmp_gt_i32_e32 vcc, 1, v11
	v_and_b32_e32 v12, 7, v5
	v_cndmask_b32_e32 v10, v15, v10, vcc
	v_cmp_lt_i32_e32 vcc, 5, v12
	v_cmp_eq_u32_e64 s[0:1], 3, v12
	v_lshrrev_b32_e32 v5, 2, v5
	v_and_b32_e32 v13, 7, v10
	s_or_b64 vcc, s[0:1], vcc
	v_cmp_lt_i32_e64 s[2:3], 5, v13
	v_cmp_eq_u32_e64 s[4:5], 3, v13
	v_addc_co_u32_e32 v5, vcc, 0, v5, vcc
	v_lshrrev_b32_e32 v10, 2, v10
	s_or_b64 vcc, s[4:5], s[2:3]
	v_addc_co_u32_e32 v10, vcc, 0, v10, vcc
	v_cmp_gt_i32_e32 vcc, 31, v9
	v_cndmask_b32_e32 v5, v2, v5, vcc
	v_cmp_gt_i32_e32 vcc, 31, v11
	v_lshl_or_b32 v3, v3, 9, v2
	v_cndmask_b32_e32 v10, v2, v10, vcc
	v_cmp_eq_u32_e32 vcc, s13, v9
	v_lshrrev_b32_e32 v6, 16, v6
	v_lshl_or_b32 v7, v7, 9, v2
	v_cndmask_b32_e32 v3, v5, v3, vcc
	v_cmp_eq_u32_e32 vcc, s13, v11
	v_lshrrev_b32_e32 v8, 16, v8
	v_cndmask_b32_e32 v5, v10, v7, vcc
	v_and_or_b32 v3, v6, s16, v3
	v_and_or_b32 v5, v8, s16, v5
	v_and_b32_e32 v3, 0xffff, v3
	v_lshl_or_b32 v3, v5, 16, v3
	global_store_dword v[0:1], v3, off
	global_load_dword v3, v[24:25], off offset:1040
	v_lshrrev_b32_e32 v5, 16, v4
	v_add_co_u32_e32 v0, vcc, s10, v0
	s_waitcnt vmcnt(0)
	v_mul_f16_sdwa v6, v5, v3 dst_sel:DWORD dst_unused:UNUSED_PAD src0_sel:DWORD src1_sel:WORD_1
	v_fma_f16 v6, v4, v3, v6
	v_mul_f16_sdwa v4, v4, v3 dst_sel:DWORD dst_unused:UNUSED_PAD src0_sel:DWORD src1_sel:WORD_1
	v_cvt_f32_f16_e32 v6, v6
	v_fma_f16 v3, v3, v5, -v4
	v_cvt_f32_f16_e32 v5, v3
	v_cvt_f64_f32_e32 v[3:4], v6
	v_cvt_f64_f32_e32 v[5:6], v5
	v_mul_f64 v[7:8], v[3:4], s[6:7]
	v_mov_b32_e32 v3, s11
	v_mul_f64 v[4:5], v[5:6], s[6:7]
	v_addc_co_u32_e32 v1, vcc, v1, v3, vcc
	v_and_or_b32 v6, v8, s17, v7
	v_cmp_ne_u32_e32 vcc, 0, v6
	v_and_or_b32 v4, v5, s17, v4
	v_lshrrev_b32_e32 v7, 8, v8
	v_bfe_u32 v9, v8, 20, 11
	v_cndmask_b32_e64 v6, 0, 1, vcc
	v_cmp_ne_u32_e32 vcc, 0, v4
	v_lshrrev_b32_e32 v10, 8, v5
	v_bfe_u32 v11, v5, 20, 11
	v_sub_u32_e32 v12, 0x3f1, v9
	v_cndmask_b32_e64 v4, 0, 1, vcc
	v_and_or_b32 v6, v7, s12, v6
	v_sub_u32_e32 v13, 0x3f1, v11
	v_med3_i32 v7, v12, 0, 13
	v_and_or_b32 v4, v10, s12, v4
	v_or_b32_e32 v12, 0x1000, v6
	v_add_u32_e32 v9, 0xfffffc10, v9
	v_med3_i32 v10, v13, 0, 13
	v_cmp_ne_u32_e32 vcc, 0, v6
	v_or_b32_e32 v14, 0x1000, v4
	v_lshrrev_b32_e32 v16, v7, v12
	v_add_u32_e32 v11, 0xfffffc10, v11
	v_lshl_or_b32 v13, v9, 12, v6
	v_cndmask_b32_e64 v6, 0, 1, vcc
	v_cmp_ne_u32_e32 vcc, 0, v4
	v_lshrrev_b32_e32 v17, v10, v14
	v_lshlrev_b32_e32 v7, v7, v16
	v_lshl_or_b32 v15, v11, 12, v4
	v_cndmask_b32_e64 v4, 0, 1, vcc
	v_lshlrev_b32_e32 v10, v10, v17
	v_cmp_ne_u32_e32 vcc, v7, v12
	v_cndmask_b32_e64 v7, 0, 1, vcc
	v_cmp_ne_u32_e32 vcc, v10, v14
	v_cndmask_b32_e64 v10, 0, 1, vcc
	v_or_b32_e32 v7, v16, v7
	v_cmp_gt_i32_e32 vcc, 1, v9
	v_cndmask_b32_e32 v7, v13, v7, vcc
	v_or_b32_e32 v10, v17, v10
	v_cmp_gt_i32_e32 vcc, 1, v11
	v_and_b32_e32 v12, 7, v7
	v_cndmask_b32_e32 v10, v15, v10, vcc
	v_cmp_lt_i32_e32 vcc, 5, v12
	v_cmp_eq_u32_e64 s[0:1], 3, v12
	v_lshrrev_b32_e32 v7, 2, v7
	v_and_b32_e32 v13, 7, v10
	s_or_b64 vcc, s[0:1], vcc
	v_cmp_lt_i32_e64 s[2:3], 5, v13
	v_cmp_eq_u32_e64 s[4:5], 3, v13
	v_addc_co_u32_e32 v7, vcc, 0, v7, vcc
	v_lshrrev_b32_e32 v10, 2, v10
	s_or_b64 vcc, s[4:5], s[2:3]
	v_addc_co_u32_e32 v10, vcc, 0, v10, vcc
	v_cmp_gt_i32_e32 vcc, 31, v9
	v_cndmask_b32_e32 v7, v2, v7, vcc
	v_cmp_gt_i32_e32 vcc, 31, v11
	v_lshl_or_b32 v6, v6, 9, v2
	v_cndmask_b32_e32 v10, v2, v10, vcc
	v_cmp_eq_u32_e32 vcc, s13, v9
	v_lshrrev_b32_e32 v8, 16, v8
	v_lshl_or_b32 v4, v4, 9, v2
	v_cndmask_b32_e32 v6, v7, v6, vcc
	v_cmp_eq_u32_e32 vcc, s13, v11
	v_lshrrev_b32_e32 v5, 16, v5
	v_cndmask_b32_e32 v4, v10, v4, vcc
	v_and_or_b32 v6, v8, s16, v6
	v_and_or_b32 v4, v5, s16, v4
	v_and_b32_e32 v5, 0xffff, v6
	v_lshl_or_b32 v4, v4, 16, v5
	global_store_dword v[0:1], v4, off
	global_load_dword v6, v[24:25], off offset:1640
	ds_read2_b32 v[4:5], v29 offset0:26 offset1:176
	v_add_co_u32_e32 v0, vcc, s10, v0
	v_addc_co_u32_e32 v1, vcc, v1, v3, vcc
	s_waitcnt lgkmcnt(0)
	v_lshrrev_b32_e32 v7, 16, v4
	s_waitcnt vmcnt(0)
	v_mul_f16_sdwa v8, v7, v6 dst_sel:DWORD dst_unused:UNUSED_PAD src0_sel:DWORD src1_sel:WORD_1
	v_fma_f16 v8, v4, v6, v8
	v_mul_f16_sdwa v4, v4, v6 dst_sel:DWORD dst_unused:UNUSED_PAD src0_sel:DWORD src1_sel:WORD_1
	v_cvt_f32_f16_e32 v8, v8
	v_fma_f16 v4, v6, v7, -v4
	v_cvt_f32_f16_e32 v4, v4
	v_cvt_f64_f32_e32 v[6:7], v8
	v_cvt_f64_f32_e32 v[8:9], v4
	v_mul_f64 v[6:7], v[6:7], s[6:7]
	v_mul_f64 v[8:9], v[8:9], s[6:7]
	v_and_or_b32 v4, v7, s17, v6
	v_cmp_ne_u32_e32 vcc, 0, v4
	v_and_or_b32 v8, v9, s17, v8
	v_lshrrev_b32_e32 v6, 8, v7
	v_bfe_u32 v10, v7, 20, 11
	v_cndmask_b32_e64 v4, 0, 1, vcc
	v_cmp_ne_u32_e32 vcc, 0, v8
	v_lshrrev_b32_e32 v11, 8, v9
	v_bfe_u32 v12, v9, 20, 11
	v_sub_u32_e32 v13, 0x3f1, v10
	v_cndmask_b32_e64 v8, 0, 1, vcc
	v_and_or_b32 v4, v6, s12, v4
	v_sub_u32_e32 v14, 0x3f1, v12
	v_med3_i32 v6, v13, 0, 13
	v_and_or_b32 v8, v11, s12, v8
	v_or_b32_e32 v13, 0x1000, v4
	v_add_u32_e32 v10, 0xfffffc10, v10
	v_med3_i32 v11, v14, 0, 13
	v_cmp_ne_u32_e32 vcc, 0, v4
	v_or_b32_e32 v15, 0x1000, v8
	v_lshrrev_b32_e32 v17, v6, v13
	v_add_u32_e32 v12, 0xfffffc10, v12
	v_lshl_or_b32 v14, v10, 12, v4
	v_cndmask_b32_e64 v4, 0, 1, vcc
	v_cmp_ne_u32_e32 vcc, 0, v8
	v_lshrrev_b32_e32 v18, v11, v15
	v_lshlrev_b32_e32 v6, v6, v17
	v_lshl_or_b32 v16, v12, 12, v8
	v_cndmask_b32_e64 v8, 0, 1, vcc
	v_lshlrev_b32_e32 v11, v11, v18
	v_cmp_ne_u32_e32 vcc, v6, v13
	v_cndmask_b32_e64 v6, 0, 1, vcc
	v_cmp_ne_u32_e32 vcc, v11, v15
	v_cndmask_b32_e64 v11, 0, 1, vcc
	v_or_b32_e32 v6, v17, v6
	v_cmp_gt_i32_e32 vcc, 1, v10
	v_cndmask_b32_e32 v6, v14, v6, vcc
	v_or_b32_e32 v11, v18, v11
	v_cmp_gt_i32_e32 vcc, 1, v12
	v_and_b32_e32 v13, 7, v6
	v_cndmask_b32_e32 v11, v16, v11, vcc
	v_cmp_lt_i32_e32 vcc, 5, v13
	v_cmp_eq_u32_e64 s[0:1], 3, v13
	v_lshrrev_b32_e32 v6, 2, v6
	v_and_b32_e32 v14, 7, v11
	s_or_b64 vcc, s[0:1], vcc
	v_cmp_lt_i32_e64 s[2:3], 5, v14
	v_cmp_eq_u32_e64 s[4:5], 3, v14
	v_addc_co_u32_e32 v6, vcc, 0, v6, vcc
	v_lshrrev_b32_e32 v11, 2, v11
	s_or_b64 vcc, s[4:5], s[2:3]
	v_addc_co_u32_e32 v11, vcc, 0, v11, vcc
	v_cmp_gt_i32_e32 vcc, 31, v10
	v_cndmask_b32_e32 v6, v2, v6, vcc
	v_cmp_gt_i32_e32 vcc, 31, v12
	v_lshl_or_b32 v4, v4, 9, v2
	v_cndmask_b32_e32 v11, v2, v11, vcc
	v_cmp_eq_u32_e32 vcc, s13, v10
	v_lshrrev_b32_e32 v7, 16, v7
	v_lshl_or_b32 v8, v8, 9, v2
	v_cndmask_b32_e32 v4, v6, v4, vcc
	v_cmp_eq_u32_e32 vcc, s13, v12
	v_lshrrev_b32_e32 v9, 16, v9
	v_cndmask_b32_e32 v6, v11, v8, vcc
	v_and_or_b32 v4, v7, s16, v4
	v_and_or_b32 v6, v9, s16, v6
	v_and_b32_e32 v4, 0xffff, v4
	v_lshl_or_b32 v4, v6, 16, v4
	global_store_dword v[0:1], v4, off
	global_load_dword v4, v[24:25], off offset:2240
	v_lshrrev_b32_e32 v6, 16, v5
	v_add_co_u32_e32 v0, vcc, s10, v0
	v_addc_co_u32_e32 v1, vcc, v1, v3, vcc
	s_waitcnt vmcnt(0)
	v_mul_f16_sdwa v7, v6, v4 dst_sel:DWORD dst_unused:UNUSED_PAD src0_sel:DWORD src1_sel:WORD_1
	v_fma_f16 v7, v5, v4, v7
	v_mul_f16_sdwa v5, v5, v4 dst_sel:DWORD dst_unused:UNUSED_PAD src0_sel:DWORD src1_sel:WORD_1
	v_cvt_f32_f16_e32 v7, v7
	v_fma_f16 v4, v4, v6, -v5
	v_cvt_f32_f16_e32 v6, v4
	v_cvt_f64_f32_e32 v[4:5], v7
	v_cvt_f64_f32_e32 v[6:7], v6
	v_mul_f64 v[4:5], v[4:5], s[6:7]
	v_mul_f64 v[6:7], v[6:7], s[6:7]
	v_and_or_b32 v4, v5, s17, v4
	v_cmp_ne_u32_e32 vcc, 0, v4
	v_and_or_b32 v6, v7, s17, v6
	v_lshrrev_b32_e32 v8, 8, v5
	v_bfe_u32 v9, v5, 20, 11
	v_cndmask_b32_e64 v4, 0, 1, vcc
	v_cmp_ne_u32_e32 vcc, 0, v6
	v_lshrrev_b32_e32 v10, 8, v7
	v_bfe_u32 v11, v7, 20, 11
	v_sub_u32_e32 v12, 0x3f1, v9
	v_cndmask_b32_e64 v6, 0, 1, vcc
	v_and_or_b32 v4, v8, s12, v4
	v_sub_u32_e32 v13, 0x3f1, v11
	v_med3_i32 v8, v12, 0, 13
	v_and_or_b32 v6, v10, s12, v6
	v_or_b32_e32 v12, 0x1000, v4
	v_add_u32_e32 v9, 0xfffffc10, v9
	v_med3_i32 v10, v13, 0, 13
	v_cmp_ne_u32_e32 vcc, 0, v4
	v_or_b32_e32 v14, 0x1000, v6
	v_lshrrev_b32_e32 v16, v8, v12
	v_add_u32_e32 v11, 0xfffffc10, v11
	v_lshl_or_b32 v13, v9, 12, v4
	v_cndmask_b32_e64 v4, 0, 1, vcc
	v_cmp_ne_u32_e32 vcc, 0, v6
	v_lshrrev_b32_e32 v17, v10, v14
	v_lshlrev_b32_e32 v8, v8, v16
	v_lshl_or_b32 v15, v11, 12, v6
	v_cndmask_b32_e64 v6, 0, 1, vcc
	v_lshlrev_b32_e32 v10, v10, v17
	v_cmp_ne_u32_e32 vcc, v8, v12
	v_cndmask_b32_e64 v8, 0, 1, vcc
	v_cmp_ne_u32_e32 vcc, v10, v14
	v_cndmask_b32_e64 v10, 0, 1, vcc
	v_or_b32_e32 v8, v16, v8
	v_cmp_gt_i32_e32 vcc, 1, v9
	v_cndmask_b32_e32 v8, v13, v8, vcc
	v_or_b32_e32 v10, v17, v10
	v_cmp_gt_i32_e32 vcc, 1, v11
	v_and_b32_e32 v12, 7, v8
	v_cndmask_b32_e32 v10, v15, v10, vcc
	v_cmp_lt_i32_e32 vcc, 5, v12
	v_cmp_eq_u32_e64 s[0:1], 3, v12
	v_lshrrev_b32_e32 v8, 2, v8
	v_and_b32_e32 v13, 7, v10
	s_or_b64 vcc, s[0:1], vcc
	v_cmp_lt_i32_e64 s[2:3], 5, v13
	v_cmp_eq_u32_e64 s[4:5], 3, v13
	v_addc_co_u32_e32 v8, vcc, 0, v8, vcc
	v_lshrrev_b32_e32 v10, 2, v10
	s_or_b64 vcc, s[4:5], s[2:3]
	v_addc_co_u32_e32 v10, vcc, 0, v10, vcc
	v_cmp_gt_i32_e32 vcc, 31, v9
	v_cndmask_b32_e32 v8, v2, v8, vcc
	v_cmp_gt_i32_e32 vcc, 31, v11
	v_lshl_or_b32 v4, v4, 9, v2
	v_cndmask_b32_e32 v10, v2, v10, vcc
	v_cmp_eq_u32_e32 vcc, s13, v9
	v_lshrrev_b32_e32 v5, 16, v5
	v_lshl_or_b32 v6, v6, 9, v2
	v_cndmask_b32_e32 v4, v8, v4, vcc
	v_cmp_eq_u32_e32 vcc, s13, v11
	v_lshrrev_b32_e32 v7, 16, v7
	v_cndmask_b32_e32 v6, v10, v6, vcc
	v_and_or_b32 v4, v5, s16, v4
	v_and_or_b32 v5, v7, s16, v6
	v_and_b32_e32 v4, 0xffff, v4
	v_lshl_or_b32 v4, v5, 16, v4
	global_store_dword v[0:1], v4, off
	global_load_dword v6, v[24:25], off offset:2840
	ds_read2_b32 v[4:5], v28 offset0:70 offset1:220
	v_add_co_u32_e32 v0, vcc, s10, v0
	v_addc_co_u32_e32 v1, vcc, v1, v3, vcc
	s_waitcnt lgkmcnt(0)
	v_lshrrev_b32_e32 v7, 16, v4
	s_waitcnt vmcnt(0)
	v_mul_f16_sdwa v8, v7, v6 dst_sel:DWORD dst_unused:UNUSED_PAD src0_sel:DWORD src1_sel:WORD_1
	v_fma_f16 v8, v4, v6, v8
	v_mul_f16_sdwa v4, v4, v6 dst_sel:DWORD dst_unused:UNUSED_PAD src0_sel:DWORD src1_sel:WORD_1
	v_cvt_f32_f16_e32 v8, v8
	v_fma_f16 v4, v6, v7, -v4
	v_cvt_f32_f16_e32 v4, v4
	v_cvt_f64_f32_e32 v[6:7], v8
	v_cvt_f64_f32_e32 v[8:9], v4
	v_mul_f64 v[6:7], v[6:7], s[6:7]
	v_mul_f64 v[8:9], v[8:9], s[6:7]
	v_and_or_b32 v4, v7, s17, v6
	v_cmp_ne_u32_e32 vcc, 0, v4
	v_and_or_b32 v8, v9, s17, v8
	v_lshrrev_b32_e32 v6, 8, v7
	v_bfe_u32 v10, v7, 20, 11
	v_cndmask_b32_e64 v4, 0, 1, vcc
	v_cmp_ne_u32_e32 vcc, 0, v8
	v_lshrrev_b32_e32 v11, 8, v9
	v_bfe_u32 v12, v9, 20, 11
	v_sub_u32_e32 v13, 0x3f1, v10
	v_cndmask_b32_e64 v8, 0, 1, vcc
	v_and_or_b32 v4, v6, s12, v4
	v_sub_u32_e32 v14, 0x3f1, v12
	v_med3_i32 v6, v13, 0, 13
	v_and_or_b32 v8, v11, s12, v8
	v_or_b32_e32 v13, 0x1000, v4
	v_add_u32_e32 v10, 0xfffffc10, v10
	v_med3_i32 v11, v14, 0, 13
	v_cmp_ne_u32_e32 vcc, 0, v4
	v_or_b32_e32 v15, 0x1000, v8
	v_lshrrev_b32_e32 v17, v6, v13
	v_add_u32_e32 v12, 0xfffffc10, v12
	v_lshl_or_b32 v14, v10, 12, v4
	v_cndmask_b32_e64 v4, 0, 1, vcc
	v_cmp_ne_u32_e32 vcc, 0, v8
	v_lshrrev_b32_e32 v18, v11, v15
	v_lshlrev_b32_e32 v6, v6, v17
	v_lshl_or_b32 v16, v12, 12, v8
	v_cndmask_b32_e64 v8, 0, 1, vcc
	v_lshlrev_b32_e32 v11, v11, v18
	v_cmp_ne_u32_e32 vcc, v6, v13
	v_cndmask_b32_e64 v6, 0, 1, vcc
	v_cmp_ne_u32_e32 vcc, v11, v15
	v_cndmask_b32_e64 v11, 0, 1, vcc
	v_or_b32_e32 v6, v17, v6
	v_cmp_gt_i32_e32 vcc, 1, v10
	v_cndmask_b32_e32 v6, v14, v6, vcc
	v_or_b32_e32 v11, v18, v11
	v_cmp_gt_i32_e32 vcc, 1, v12
	v_and_b32_e32 v13, 7, v6
	v_cndmask_b32_e32 v11, v16, v11, vcc
	v_cmp_lt_i32_e32 vcc, 5, v13
	v_cmp_eq_u32_e64 s[0:1], 3, v13
	v_lshrrev_b32_e32 v6, 2, v6
	v_and_b32_e32 v14, 7, v11
	s_or_b64 vcc, s[0:1], vcc
	v_cmp_lt_i32_e64 s[2:3], 5, v14
	v_cmp_eq_u32_e64 s[4:5], 3, v14
	v_addc_co_u32_e32 v6, vcc, 0, v6, vcc
	v_lshrrev_b32_e32 v11, 2, v11
	s_or_b64 vcc, s[4:5], s[2:3]
	v_addc_co_u32_e32 v11, vcc, 0, v11, vcc
	v_cmp_gt_i32_e32 vcc, 31, v10
	v_cndmask_b32_e32 v6, v2, v6, vcc
	v_cmp_gt_i32_e32 vcc, 31, v12
	v_lshl_or_b32 v4, v4, 9, v2
	v_cndmask_b32_e32 v11, v2, v11, vcc
	v_cmp_eq_u32_e32 vcc, s13, v10
	v_lshrrev_b32_e32 v7, 16, v7
	v_lshl_or_b32 v8, v8, 9, v2
	v_cndmask_b32_e32 v4, v6, v4, vcc
	v_cmp_eq_u32_e32 vcc, s13, v12
	v_lshrrev_b32_e32 v9, 16, v9
	v_cndmask_b32_e32 v6, v11, v8, vcc
	v_and_or_b32 v4, v7, s16, v4
	v_and_or_b32 v6, v9, s16, v6
	v_and_b32_e32 v4, 0xffff, v4
	v_lshl_or_b32 v4, v6, 16, v4
	global_store_dword v[0:1], v4, off
	global_load_dword v4, v[24:25], off offset:3440
	v_lshrrev_b32_e32 v6, 16, v5
	v_add_co_u32_e32 v8, vcc, s10, v0
	v_addc_co_u32_e32 v9, vcc, v1, v3, vcc
	s_waitcnt vmcnt(0)
	v_mul_f16_sdwa v7, v6, v4 dst_sel:DWORD dst_unused:UNUSED_PAD src0_sel:DWORD src1_sel:WORD_1
	v_fma_f16 v7, v5, v4, v7
	v_mul_f16_sdwa v5, v5, v4 dst_sel:DWORD dst_unused:UNUSED_PAD src0_sel:DWORD src1_sel:WORD_1
	v_cvt_f32_f16_e32 v7, v7
	v_fma_f16 v4, v4, v6, -v5
	v_cvt_f32_f16_e32 v6, v4
	v_cvt_f64_f32_e32 v[4:5], v7
	v_cvt_f64_f32_e32 v[6:7], v6
	v_mul_f64 v[4:5], v[4:5], s[6:7]
	v_mul_f64 v[6:7], v[6:7], s[6:7]
	v_and_or_b32 v0, v5, s17, v4
	v_cmp_ne_u32_e32 vcc, 0, v0
	v_and_or_b32 v6, v7, s17, v6
	v_lshrrev_b32_e32 v1, 8, v5
	v_bfe_u32 v4, v5, 20, 11
	v_cndmask_b32_e64 v0, 0, 1, vcc
	v_cmp_ne_u32_e32 vcc, 0, v6
	v_lshrrev_b32_e32 v10, 8, v7
	v_bfe_u32 v11, v7, 20, 11
	v_sub_u32_e32 v12, 0x3f1, v4
	v_cndmask_b32_e64 v6, 0, 1, vcc
	v_and_or_b32 v0, v1, s12, v0
	v_sub_u32_e32 v13, 0x3f1, v11
	v_med3_i32 v1, v12, 0, 13
	v_and_or_b32 v6, v10, s12, v6
	v_or_b32_e32 v12, 0x1000, v0
	v_add_u32_e32 v4, 0xfffffc10, v4
	v_med3_i32 v10, v13, 0, 13
	v_cmp_ne_u32_e32 vcc, 0, v0
	v_or_b32_e32 v14, 0x1000, v6
	v_lshrrev_b32_e32 v16, v1, v12
	v_add_u32_e32 v11, 0xfffffc10, v11
	v_lshl_or_b32 v13, v4, 12, v0
	v_cndmask_b32_e64 v0, 0, 1, vcc
	v_cmp_ne_u32_e32 vcc, 0, v6
	v_lshrrev_b32_e32 v17, v10, v14
	v_lshlrev_b32_e32 v1, v1, v16
	v_lshl_or_b32 v15, v11, 12, v6
	v_cndmask_b32_e64 v6, 0, 1, vcc
	v_lshlrev_b32_e32 v10, v10, v17
	v_cmp_ne_u32_e32 vcc, v1, v12
	v_cndmask_b32_e64 v1, 0, 1, vcc
	v_cmp_ne_u32_e32 vcc, v10, v14
	v_cndmask_b32_e64 v10, 0, 1, vcc
	v_or_b32_e32 v1, v16, v1
	v_cmp_gt_i32_e32 vcc, 1, v4
	v_cndmask_b32_e32 v1, v13, v1, vcc
	v_or_b32_e32 v10, v17, v10
	v_cmp_gt_i32_e32 vcc, 1, v11
	v_and_b32_e32 v12, 7, v1
	v_cndmask_b32_e32 v10, v15, v10, vcc
	v_cmp_lt_i32_e32 vcc, 5, v12
	v_cmp_eq_u32_e64 s[0:1], 3, v12
	v_lshrrev_b32_e32 v1, 2, v1
	v_and_b32_e32 v13, 7, v10
	s_or_b64 vcc, s[0:1], vcc
	v_cmp_lt_i32_e64 s[2:3], 5, v13
	v_cmp_eq_u32_e64 s[4:5], 3, v13
	v_addc_co_u32_e32 v1, vcc, 0, v1, vcc
	v_lshrrev_b32_e32 v10, 2, v10
	s_or_b64 vcc, s[4:5], s[2:3]
	v_addc_co_u32_e32 v10, vcc, 0, v10, vcc
	v_cmp_gt_i32_e32 vcc, 31, v4
	v_cndmask_b32_e32 v1, v2, v1, vcc
	v_cmp_gt_i32_e32 vcc, 31, v11
	v_lshl_or_b32 v0, v0, 9, v2
	v_cndmask_b32_e32 v10, v2, v10, vcc
	v_cmp_eq_u32_e32 vcc, s13, v4
	v_lshrrev_b32_e32 v5, 16, v5
	v_lshl_or_b32 v6, v6, 9, v2
	v_cndmask_b32_e32 v0, v1, v0, vcc
	v_cmp_eq_u32_e32 vcc, s13, v11
	v_lshrrev_b32_e32 v7, 16, v7
	v_cndmask_b32_e32 v1, v10, v6, vcc
	v_and_or_b32 v0, v5, s16, v0
	v_and_or_b32 v1, v7, s16, v1
	v_and_b32_e32 v0, 0xffff, v0
	v_lshl_or_b32 v0, v1, 16, v0
	global_store_dword v[8:9], v0, off
	global_load_dword v0, v[24:25], off offset:4040
	v_add_u32_e32 v1, 0xf00, v57
	ds_read2_b32 v[4:5], v1 offset0:50 offset1:200
	s_waitcnt lgkmcnt(0)
	v_lshrrev_b32_e32 v1, 16, v4
	s_waitcnt vmcnt(0)
	v_mul_f16_sdwa v6, v1, v0 dst_sel:DWORD dst_unused:UNUSED_PAD src0_sel:DWORD src1_sel:WORD_1
	v_fma_f16 v6, v4, v0, v6
	v_mul_f16_sdwa v4, v4, v0 dst_sel:DWORD dst_unused:UNUSED_PAD src0_sel:DWORD src1_sel:WORD_1
	v_cvt_f32_f16_e32 v6, v6
	v_fma_f16 v0, v0, v1, -v4
	v_cvt_f32_f16_e32 v4, v0
	v_cvt_f64_f32_e32 v[0:1], v6
	v_cvt_f64_f32_e32 v[6:7], v4
	v_mul_f64 v[10:11], v[0:1], s[6:7]
	v_add_co_u32_e32 v0, vcc, s18, v24
	v_mul_f64 v[6:7], v[6:7], s[6:7]
	v_addc_co_u32_e32 v1, vcc, 0, v25, vcc
	v_add_co_u32_e32 v8, vcc, s10, v8
	v_addc_co_u32_e32 v9, vcc, v9, v3, vcc
	v_and_or_b32 v4, v11, s17, v10
	v_and_or_b32 v6, v7, s17, v6
	v_cmp_ne_u32_e32 vcc, 0, v4
	v_lshrrev_b32_e32 v10, 8, v11
	v_bfe_u32 v12, v11, 20, 11
	v_cndmask_b32_e64 v4, 0, 1, vcc
	v_cmp_ne_u32_e32 vcc, 0, v6
	v_lshrrev_b32_e32 v13, 8, v7
	v_bfe_u32 v14, v7, 20, 11
	v_sub_u32_e32 v15, 0x3f1, v12
	v_cndmask_b32_e64 v6, 0, 1, vcc
	v_and_or_b32 v4, v10, s12, v4
	v_sub_u32_e32 v16, 0x3f1, v14
	v_med3_i32 v10, v15, 0, 13
	v_and_or_b32 v6, v13, s12, v6
	v_or_b32_e32 v15, 0x1000, v4
	v_add_u32_e32 v12, 0xfffffc10, v12
	v_med3_i32 v13, v16, 0, 13
	v_cmp_ne_u32_e32 vcc, 0, v4
	v_or_b32_e32 v17, 0x1000, v6
	v_lshrrev_b32_e32 v19, v10, v15
	v_add_u32_e32 v14, 0xfffffc10, v14
	v_lshl_or_b32 v16, v12, 12, v4
	v_cndmask_b32_e64 v4, 0, 1, vcc
	v_cmp_ne_u32_e32 vcc, 0, v6
	v_lshrrev_b32_e32 v20, v13, v17
	v_lshlrev_b32_e32 v10, v10, v19
	v_lshl_or_b32 v18, v14, 12, v6
	v_cndmask_b32_e64 v6, 0, 1, vcc
	v_lshlrev_b32_e32 v13, v13, v20
	v_cmp_ne_u32_e32 vcc, v10, v15
	v_cndmask_b32_e64 v10, 0, 1, vcc
	v_cmp_ne_u32_e32 vcc, v13, v17
	v_cndmask_b32_e64 v13, 0, 1, vcc
	v_or_b32_e32 v10, v19, v10
	v_cmp_gt_i32_e32 vcc, 1, v12
	v_cndmask_b32_e32 v10, v16, v10, vcc
	v_or_b32_e32 v13, v20, v13
	v_cmp_gt_i32_e32 vcc, 1, v14
	v_and_b32_e32 v15, 7, v10
	v_cndmask_b32_e32 v13, v18, v13, vcc
	v_cmp_lt_i32_e32 vcc, 5, v15
	v_cmp_eq_u32_e64 s[0:1], 3, v15
	v_lshrrev_b32_e32 v10, 2, v10
	v_and_b32_e32 v16, 7, v13
	s_or_b64 vcc, s[0:1], vcc
	v_cmp_lt_i32_e64 s[2:3], 5, v16
	v_cmp_eq_u32_e64 s[4:5], 3, v16
	v_addc_co_u32_e32 v10, vcc, 0, v10, vcc
	v_lshrrev_b32_e32 v13, 2, v13
	s_or_b64 vcc, s[4:5], s[2:3]
	v_addc_co_u32_e32 v13, vcc, 0, v13, vcc
	v_cmp_gt_i32_e32 vcc, 31, v12
	v_cndmask_b32_e32 v10, v2, v10, vcc
	v_cmp_gt_i32_e32 vcc, 31, v14
	v_lshl_or_b32 v4, v4, 9, v2
	v_cndmask_b32_e32 v13, v2, v13, vcc
	v_cmp_eq_u32_e32 vcc, s13, v12
	v_lshrrev_b32_e32 v11, 16, v11
	v_lshl_or_b32 v6, v6, 9, v2
	v_cndmask_b32_e32 v4, v10, v4, vcc
	v_cmp_eq_u32_e32 vcc, s13, v14
	v_lshrrev_b32_e32 v7, 16, v7
	v_cndmask_b32_e32 v6, v13, v6, vcc
	v_and_or_b32 v4, v11, s16, v4
	v_and_or_b32 v6, v7, s16, v6
	v_and_b32_e32 v4, 0xffff, v4
	v_lshl_or_b32 v4, v6, 16, v4
	global_store_dword v[8:9], v4, off
	global_load_dword v4, v[0:1], off offset:544
	v_lshrrev_b32_e32 v6, 16, v5
	v_add_co_u32_e32 v8, vcc, s10, v8
	v_addc_co_u32_e32 v9, vcc, v9, v3, vcc
	s_waitcnt vmcnt(0)
	v_mul_f16_sdwa v7, v6, v4 dst_sel:DWORD dst_unused:UNUSED_PAD src0_sel:DWORD src1_sel:WORD_1
	v_fma_f16 v7, v5, v4, v7
	v_mul_f16_sdwa v5, v5, v4 dst_sel:DWORD dst_unused:UNUSED_PAD src0_sel:DWORD src1_sel:WORD_1
	v_cvt_f32_f16_e32 v7, v7
	v_fma_f16 v4, v4, v6, -v5
	v_cvt_f32_f16_e32 v6, v4
	v_cvt_f64_f32_e32 v[4:5], v7
	v_cvt_f64_f32_e32 v[6:7], v6
	v_mul_f64 v[4:5], v[4:5], s[6:7]
	v_mul_f64 v[6:7], v[6:7], s[6:7]
	v_and_or_b32 v4, v5, s17, v4
	v_cmp_ne_u32_e32 vcc, 0, v4
	v_and_or_b32 v6, v7, s17, v6
	v_lshrrev_b32_e32 v10, 8, v5
	v_bfe_u32 v11, v5, 20, 11
	v_cndmask_b32_e64 v4, 0, 1, vcc
	v_cmp_ne_u32_e32 vcc, 0, v6
	v_lshrrev_b32_e32 v12, 8, v7
	v_bfe_u32 v13, v7, 20, 11
	v_sub_u32_e32 v14, 0x3f1, v11
	v_cndmask_b32_e64 v6, 0, 1, vcc
	v_and_or_b32 v4, v10, s12, v4
	v_sub_u32_e32 v15, 0x3f1, v13
	v_med3_i32 v10, v14, 0, 13
	v_and_or_b32 v6, v12, s12, v6
	v_or_b32_e32 v14, 0x1000, v4
	v_add_u32_e32 v11, 0xfffffc10, v11
	v_med3_i32 v12, v15, 0, 13
	v_cmp_ne_u32_e32 vcc, 0, v4
	v_or_b32_e32 v16, 0x1000, v6
	v_lshrrev_b32_e32 v18, v10, v14
	v_add_u32_e32 v13, 0xfffffc10, v13
	v_lshl_or_b32 v15, v11, 12, v4
	v_cndmask_b32_e64 v4, 0, 1, vcc
	v_cmp_ne_u32_e32 vcc, 0, v6
	v_lshrrev_b32_e32 v19, v12, v16
	v_lshlrev_b32_e32 v10, v10, v18
	v_lshl_or_b32 v17, v13, 12, v6
	v_cndmask_b32_e64 v6, 0, 1, vcc
	v_lshlrev_b32_e32 v12, v12, v19
	v_cmp_ne_u32_e32 vcc, v10, v14
	v_cndmask_b32_e64 v10, 0, 1, vcc
	v_cmp_ne_u32_e32 vcc, v12, v16
	v_cndmask_b32_e64 v12, 0, 1, vcc
	v_or_b32_e32 v10, v18, v10
	v_cmp_gt_i32_e32 vcc, 1, v11
	v_cndmask_b32_e32 v10, v15, v10, vcc
	v_or_b32_e32 v12, v19, v12
	v_cmp_gt_i32_e32 vcc, 1, v13
	v_and_b32_e32 v14, 7, v10
	v_cndmask_b32_e32 v12, v17, v12, vcc
	v_cmp_lt_i32_e32 vcc, 5, v14
	v_cmp_eq_u32_e64 s[0:1], 3, v14
	v_lshrrev_b32_e32 v10, 2, v10
	v_and_b32_e32 v15, 7, v12
	s_or_b64 vcc, s[0:1], vcc
	v_cmp_lt_i32_e64 s[2:3], 5, v15
	v_cmp_eq_u32_e64 s[4:5], 3, v15
	v_addc_co_u32_e32 v10, vcc, 0, v10, vcc
	v_lshrrev_b32_e32 v12, 2, v12
	s_or_b64 vcc, s[4:5], s[2:3]
	v_addc_co_u32_e32 v12, vcc, 0, v12, vcc
	v_cmp_gt_i32_e32 vcc, 31, v11
	v_cndmask_b32_e32 v10, v2, v10, vcc
	v_cmp_gt_i32_e32 vcc, 31, v13
	v_lshl_or_b32 v4, v4, 9, v2
	v_cndmask_b32_e32 v12, v2, v12, vcc
	v_cmp_eq_u32_e32 vcc, s13, v11
	v_lshrrev_b32_e32 v5, 16, v5
	v_lshl_or_b32 v6, v6, 9, v2
	v_cndmask_b32_e32 v4, v10, v4, vcc
	v_cmp_eq_u32_e32 vcc, s13, v13
	v_lshrrev_b32_e32 v7, 16, v7
	v_cndmask_b32_e32 v6, v12, v6, vcc
	v_and_or_b32 v4, v5, s16, v4
	v_and_or_b32 v5, v7, s16, v6
	v_and_b32_e32 v4, 0xffff, v4
	v_lshl_or_b32 v4, v5, 16, v4
	global_store_dword v[8:9], v4, off
	global_load_dword v6, v[0:1], off offset:1144
	ds_read2_b32 v[4:5], v27 offset0:30 offset1:180
	v_add_co_u32_e32 v8, vcc, s10, v8
	v_addc_co_u32_e32 v9, vcc, v9, v3, vcc
	s_waitcnt lgkmcnt(0)
	v_lshrrev_b32_e32 v7, 16, v4
	s_waitcnt vmcnt(0)
	v_mul_f16_sdwa v10, v7, v6 dst_sel:DWORD dst_unused:UNUSED_PAD src0_sel:DWORD src1_sel:WORD_1
	v_fma_f16 v10, v4, v6, v10
	v_mul_f16_sdwa v4, v4, v6 dst_sel:DWORD dst_unused:UNUSED_PAD src0_sel:DWORD src1_sel:WORD_1
	v_cvt_f32_f16_e32 v10, v10
	v_fma_f16 v4, v6, v7, -v4
	v_cvt_f32_f16_e32 v4, v4
	v_cvt_f64_f32_e32 v[6:7], v10
	v_cvt_f64_f32_e32 v[10:11], v4
	v_mul_f64 v[6:7], v[6:7], s[6:7]
	v_mul_f64 v[10:11], v[10:11], s[6:7]
	v_and_or_b32 v4, v7, s17, v6
	v_cmp_ne_u32_e32 vcc, 0, v4
	v_and_or_b32 v10, v11, s17, v10
	v_lshrrev_b32_e32 v6, 8, v7
	v_bfe_u32 v12, v7, 20, 11
	v_cndmask_b32_e64 v4, 0, 1, vcc
	v_cmp_ne_u32_e32 vcc, 0, v10
	v_lshrrev_b32_e32 v13, 8, v11
	v_bfe_u32 v14, v11, 20, 11
	v_sub_u32_e32 v15, 0x3f1, v12
	v_cndmask_b32_e64 v10, 0, 1, vcc
	v_and_or_b32 v4, v6, s12, v4
	v_sub_u32_e32 v16, 0x3f1, v14
	v_med3_i32 v6, v15, 0, 13
	v_and_or_b32 v10, v13, s12, v10
	v_or_b32_e32 v15, 0x1000, v4
	v_add_u32_e32 v12, 0xfffffc10, v12
	v_med3_i32 v13, v16, 0, 13
	v_cmp_ne_u32_e32 vcc, 0, v4
	v_or_b32_e32 v17, 0x1000, v10
	v_lshrrev_b32_e32 v19, v6, v15
	v_add_u32_e32 v14, 0xfffffc10, v14
	v_lshl_or_b32 v16, v12, 12, v4
	v_cndmask_b32_e64 v4, 0, 1, vcc
	v_cmp_ne_u32_e32 vcc, 0, v10
	v_lshrrev_b32_e32 v20, v13, v17
	v_lshlrev_b32_e32 v6, v6, v19
	v_lshl_or_b32 v18, v14, 12, v10
	v_cndmask_b32_e64 v10, 0, 1, vcc
	v_lshlrev_b32_e32 v13, v13, v20
	v_cmp_ne_u32_e32 vcc, v6, v15
	v_cndmask_b32_e64 v6, 0, 1, vcc
	v_cmp_ne_u32_e32 vcc, v13, v17
	v_cndmask_b32_e64 v13, 0, 1, vcc
	v_or_b32_e32 v6, v19, v6
	v_cmp_gt_i32_e32 vcc, 1, v12
	v_cndmask_b32_e32 v6, v16, v6, vcc
	v_or_b32_e32 v13, v20, v13
	v_cmp_gt_i32_e32 vcc, 1, v14
	v_and_b32_e32 v15, 7, v6
	v_cndmask_b32_e32 v13, v18, v13, vcc
	v_cmp_lt_i32_e32 vcc, 5, v15
	v_cmp_eq_u32_e64 s[0:1], 3, v15
	v_lshrrev_b32_e32 v6, 2, v6
	v_and_b32_e32 v16, 7, v13
	s_or_b64 vcc, s[0:1], vcc
	v_cmp_lt_i32_e64 s[2:3], 5, v16
	v_cmp_eq_u32_e64 s[4:5], 3, v16
	v_addc_co_u32_e32 v6, vcc, 0, v6, vcc
	v_lshrrev_b32_e32 v13, 2, v13
	s_or_b64 vcc, s[4:5], s[2:3]
	v_addc_co_u32_e32 v13, vcc, 0, v13, vcc
	v_cmp_gt_i32_e32 vcc, 31, v12
	v_cndmask_b32_e32 v6, v2, v6, vcc
	v_cmp_gt_i32_e32 vcc, 31, v14
	v_lshl_or_b32 v4, v4, 9, v2
	v_cndmask_b32_e32 v13, v2, v13, vcc
	v_cmp_eq_u32_e32 vcc, s13, v12
	v_lshrrev_b32_e32 v7, 16, v7
	v_lshl_or_b32 v10, v10, 9, v2
	v_cndmask_b32_e32 v4, v6, v4, vcc
	v_cmp_eq_u32_e32 vcc, s13, v14
	v_lshrrev_b32_e32 v11, 16, v11
	v_cndmask_b32_e32 v6, v13, v10, vcc
	v_and_or_b32 v4, v7, s16, v4
	v_and_or_b32 v6, v11, s16, v6
	v_and_b32_e32 v4, 0xffff, v4
	v_lshl_or_b32 v4, v6, 16, v4
	global_store_dword v[8:9], v4, off
	global_load_dword v4, v[0:1], off offset:1744
	v_lshrrev_b32_e32 v6, 16, v5
	v_add_co_u32_e32 v8, vcc, s10, v8
	v_addc_co_u32_e32 v9, vcc, v9, v3, vcc
	s_waitcnt vmcnt(0)
	v_mul_f16_sdwa v7, v6, v4 dst_sel:DWORD dst_unused:UNUSED_PAD src0_sel:DWORD src1_sel:WORD_1
	v_fma_f16 v7, v5, v4, v7
	v_mul_f16_sdwa v5, v5, v4 dst_sel:DWORD dst_unused:UNUSED_PAD src0_sel:DWORD src1_sel:WORD_1
	v_cvt_f32_f16_e32 v7, v7
	v_fma_f16 v4, v4, v6, -v5
	v_cvt_f32_f16_e32 v6, v4
	v_cvt_f64_f32_e32 v[4:5], v7
	v_cvt_f64_f32_e32 v[6:7], v6
	v_mul_f64 v[4:5], v[4:5], s[6:7]
	v_mul_f64 v[6:7], v[6:7], s[6:7]
	v_and_or_b32 v4, v5, s17, v4
	v_cmp_ne_u32_e32 vcc, 0, v4
	v_and_or_b32 v6, v7, s17, v6
	v_lshrrev_b32_e32 v10, 8, v5
	v_bfe_u32 v11, v5, 20, 11
	v_cndmask_b32_e64 v4, 0, 1, vcc
	v_cmp_ne_u32_e32 vcc, 0, v6
	v_lshrrev_b32_e32 v12, 8, v7
	v_bfe_u32 v13, v7, 20, 11
	v_sub_u32_e32 v14, 0x3f1, v11
	v_cndmask_b32_e64 v6, 0, 1, vcc
	v_and_or_b32 v4, v10, s12, v4
	v_sub_u32_e32 v15, 0x3f1, v13
	v_med3_i32 v10, v14, 0, 13
	v_and_or_b32 v6, v12, s12, v6
	v_or_b32_e32 v14, 0x1000, v4
	v_add_u32_e32 v11, 0xfffffc10, v11
	v_med3_i32 v12, v15, 0, 13
	v_cmp_ne_u32_e32 vcc, 0, v4
	v_or_b32_e32 v16, 0x1000, v6
	v_lshrrev_b32_e32 v18, v10, v14
	v_add_u32_e32 v13, 0xfffffc10, v13
	v_lshl_or_b32 v15, v11, 12, v4
	v_cndmask_b32_e64 v4, 0, 1, vcc
	v_cmp_ne_u32_e32 vcc, 0, v6
	v_lshrrev_b32_e32 v19, v12, v16
	v_lshlrev_b32_e32 v10, v10, v18
	v_lshl_or_b32 v17, v13, 12, v6
	v_cndmask_b32_e64 v6, 0, 1, vcc
	v_lshlrev_b32_e32 v12, v12, v19
	v_cmp_ne_u32_e32 vcc, v10, v14
	v_cndmask_b32_e64 v10, 0, 1, vcc
	v_cmp_ne_u32_e32 vcc, v12, v16
	v_cndmask_b32_e64 v12, 0, 1, vcc
	v_or_b32_e32 v10, v18, v10
	v_cmp_gt_i32_e32 vcc, 1, v11
	v_cndmask_b32_e32 v10, v15, v10, vcc
	v_or_b32_e32 v12, v19, v12
	v_cmp_gt_i32_e32 vcc, 1, v13
	v_and_b32_e32 v14, 7, v10
	v_cndmask_b32_e32 v12, v17, v12, vcc
	v_cmp_lt_i32_e32 vcc, 5, v14
	v_cmp_eq_u32_e64 s[0:1], 3, v14
	v_lshrrev_b32_e32 v10, 2, v10
	v_and_b32_e32 v15, 7, v12
	s_or_b64 vcc, s[0:1], vcc
	v_cmp_lt_i32_e64 s[2:3], 5, v15
	v_cmp_eq_u32_e64 s[4:5], 3, v15
	v_addc_co_u32_e32 v10, vcc, 0, v10, vcc
	v_lshrrev_b32_e32 v12, 2, v12
	s_or_b64 vcc, s[4:5], s[2:3]
	v_addc_co_u32_e32 v12, vcc, 0, v12, vcc
	v_cmp_gt_i32_e32 vcc, 31, v11
	v_cndmask_b32_e32 v10, v2, v10, vcc
	v_cmp_gt_i32_e32 vcc, 31, v13
	v_lshl_or_b32 v4, v4, 9, v2
	v_cndmask_b32_e32 v12, v2, v12, vcc
	v_cmp_eq_u32_e32 vcc, s13, v11
	v_lshrrev_b32_e32 v5, 16, v5
	v_lshl_or_b32 v6, v6, 9, v2
	v_cndmask_b32_e32 v4, v10, v4, vcc
	v_cmp_eq_u32_e32 vcc, s13, v13
	v_lshrrev_b32_e32 v7, 16, v7
	v_cndmask_b32_e32 v6, v12, v6, vcc
	v_and_or_b32 v4, v5, s16, v4
	v_and_or_b32 v5, v7, s16, v6
	v_and_b32_e32 v4, 0xffff, v4
	v_lshl_or_b32 v4, v5, 16, v4
	global_store_dword v[8:9], v4, off
	global_load_dword v0, v[0:1], off offset:2344
	ds_read_b32 v1, v57 offset:6440
	s_waitcnt lgkmcnt(0)
	v_lshrrev_b32_e32 v4, 16, v1
	s_waitcnt vmcnt(0)
	v_mul_f16_sdwa v5, v4, v0 dst_sel:DWORD dst_unused:UNUSED_PAD src0_sel:DWORD src1_sel:WORD_1
	v_fma_f16 v5, v1, v0, v5
	v_mul_f16_sdwa v1, v1, v0 dst_sel:DWORD dst_unused:UNUSED_PAD src0_sel:DWORD src1_sel:WORD_1
	v_cvt_f32_f16_e32 v5, v5
	v_fma_f16 v0, v0, v4, -v1
	v_cvt_f32_f16_e32 v4, v0
	v_cvt_f64_f32_e32 v[0:1], v5
	v_cvt_f64_f32_e32 v[4:5], v4
	v_mul_f64 v[0:1], v[0:1], s[6:7]
	v_mul_f64 v[4:5], v[4:5], s[6:7]
	v_and_or_b32 v0, v1, s17, v0
	v_cmp_ne_u32_e32 vcc, 0, v0
	v_and_or_b32 v4, v5, s17, v4
	v_lshrrev_b32_e32 v6, 8, v1
	v_bfe_u32 v7, v1, 20, 11
	v_cndmask_b32_e64 v0, 0, 1, vcc
	v_cmp_ne_u32_e32 vcc, 0, v4
	v_lshrrev_b32_e32 v10, 8, v5
	v_bfe_u32 v11, v5, 20, 11
	v_sub_u32_e32 v12, 0x3f1, v7
	v_cndmask_b32_e64 v4, 0, 1, vcc
	v_and_or_b32 v0, v6, s12, v0
	v_sub_u32_e32 v13, 0x3f1, v11
	v_med3_i32 v6, v12, 0, 13
	v_and_or_b32 v4, v10, s12, v4
	v_or_b32_e32 v12, 0x1000, v0
	v_add_u32_e32 v7, 0xfffffc10, v7
	v_med3_i32 v10, v13, 0, 13
	v_cmp_ne_u32_e32 vcc, 0, v0
	v_or_b32_e32 v14, 0x1000, v4
	v_lshrrev_b32_e32 v16, v6, v12
	v_add_u32_e32 v11, 0xfffffc10, v11
	v_lshl_or_b32 v13, v7, 12, v0
	v_cndmask_b32_e64 v0, 0, 1, vcc
	v_cmp_ne_u32_e32 vcc, 0, v4
	v_lshrrev_b32_e32 v17, v10, v14
	v_lshlrev_b32_e32 v6, v6, v16
	v_lshl_or_b32 v15, v11, 12, v4
	v_cndmask_b32_e64 v4, 0, 1, vcc
	v_lshlrev_b32_e32 v10, v10, v17
	v_cmp_ne_u32_e32 vcc, v6, v12
	v_cndmask_b32_e64 v6, 0, 1, vcc
	v_cmp_ne_u32_e32 vcc, v10, v14
	v_cndmask_b32_e64 v10, 0, 1, vcc
	v_or_b32_e32 v6, v16, v6
	v_cmp_gt_i32_e32 vcc, 1, v7
	v_cndmask_b32_e32 v6, v13, v6, vcc
	v_or_b32_e32 v10, v17, v10
	v_cmp_gt_i32_e32 vcc, 1, v11
	v_and_b32_e32 v12, 7, v6
	v_cndmask_b32_e32 v10, v15, v10, vcc
	v_cmp_lt_i32_e32 vcc, 5, v12
	v_cmp_eq_u32_e64 s[0:1], 3, v12
	v_lshrrev_b32_e32 v6, 2, v6
	v_and_b32_e32 v13, 7, v10
	s_or_b64 vcc, s[0:1], vcc
	v_cmp_lt_i32_e64 s[2:3], 5, v13
	v_cmp_eq_u32_e64 s[4:5], 3, v13
	v_addc_co_u32_e32 v6, vcc, 0, v6, vcc
	v_lshrrev_b32_e32 v10, 2, v10
	s_or_b64 vcc, s[4:5], s[2:3]
	v_addc_co_u32_e32 v10, vcc, 0, v10, vcc
	v_cmp_gt_i32_e32 vcc, 31, v7
	v_cndmask_b32_e32 v6, v2, v6, vcc
	v_cmp_gt_i32_e32 vcc, 31, v11
	v_lshl_or_b32 v0, v0, 9, v2
	v_lshl_or_b32 v4, v4, 9, v2
	v_cndmask_b32_e32 v2, v2, v10, vcc
	v_cmp_eq_u32_e32 vcc, s13, v7
	v_lshrrev_b32_e32 v1, 16, v1
	v_cndmask_b32_e32 v0, v6, v0, vcc
	v_cmp_eq_u32_e32 vcc, s13, v11
	v_lshrrev_b32_e32 v5, 16, v5
	v_cndmask_b32_e32 v2, v2, v4, vcc
	v_and_or_b32 v0, v1, s16, v0
	v_and_or_b32 v1, v5, s16, v2
	v_and_b32_e32 v0, 0xffff, v0
	v_lshl_or_b32 v2, v1, 16, v0
	v_add_co_u32_e32 v0, vcc, s10, v8
	v_addc_co_u32_e32 v1, vcc, v9, v3, vcc
	global_store_dword v[0:1], v2, off
.LBB0_23:
	s_endpgm
	.section	.rodata,"a",@progbits
	.p2align	6, 0x0
	.amdhsa_kernel bluestein_single_fwd_len1650_dim1_half_op_CI_CI
		.amdhsa_group_segment_fixed_size 6600
		.amdhsa_private_segment_fixed_size 0
		.amdhsa_kernarg_size 104
		.amdhsa_user_sgpr_count 6
		.amdhsa_user_sgpr_private_segment_buffer 1
		.amdhsa_user_sgpr_dispatch_ptr 0
		.amdhsa_user_sgpr_queue_ptr 0
		.amdhsa_user_sgpr_kernarg_segment_ptr 1
		.amdhsa_user_sgpr_dispatch_id 0
		.amdhsa_user_sgpr_flat_scratch_init 0
		.amdhsa_user_sgpr_private_segment_size 0
		.amdhsa_uses_dynamic_stack 0
		.amdhsa_system_sgpr_private_segment_wavefront_offset 0
		.amdhsa_system_sgpr_workgroup_id_x 1
		.amdhsa_system_sgpr_workgroup_id_y 0
		.amdhsa_system_sgpr_workgroup_id_z 0
		.amdhsa_system_sgpr_workgroup_info 0
		.amdhsa_system_vgpr_workitem_id 0
		.amdhsa_next_free_vgpr 188
		.amdhsa_next_free_sgpr 30
		.amdhsa_reserve_vcc 1
		.amdhsa_reserve_flat_scratch 0
		.amdhsa_float_round_mode_32 0
		.amdhsa_float_round_mode_16_64 0
		.amdhsa_float_denorm_mode_32 3
		.amdhsa_float_denorm_mode_16_64 3
		.amdhsa_dx10_clamp 1
		.amdhsa_ieee_mode 1
		.amdhsa_fp16_overflow 0
		.amdhsa_exception_fp_ieee_invalid_op 0
		.amdhsa_exception_fp_denorm_src 0
		.amdhsa_exception_fp_ieee_div_zero 0
		.amdhsa_exception_fp_ieee_overflow 0
		.amdhsa_exception_fp_ieee_underflow 0
		.amdhsa_exception_fp_ieee_inexact 0
		.amdhsa_exception_int_div_zero 0
	.end_amdhsa_kernel
	.text
.Lfunc_end0:
	.size	bluestein_single_fwd_len1650_dim1_half_op_CI_CI, .Lfunc_end0-bluestein_single_fwd_len1650_dim1_half_op_CI_CI
                                        ; -- End function
	.section	.AMDGPU.csdata,"",@progbits
; Kernel info:
; codeLenInByte = 35712
; NumSgprs: 34
; NumVgprs: 188
; ScratchSize: 0
; MemoryBound: 0
; FloatMode: 240
; IeeeMode: 1
; LDSByteSize: 6600 bytes/workgroup (compile time only)
; SGPRBlocks: 4
; VGPRBlocks: 46
; NumSGPRsForWavesPerEU: 34
; NumVGPRsForWavesPerEU: 188
; Occupancy: 1
; WaveLimiterHint : 1
; COMPUTE_PGM_RSRC2:SCRATCH_EN: 0
; COMPUTE_PGM_RSRC2:USER_SGPR: 6
; COMPUTE_PGM_RSRC2:TRAP_HANDLER: 0
; COMPUTE_PGM_RSRC2:TGID_X_EN: 1
; COMPUTE_PGM_RSRC2:TGID_Y_EN: 0
; COMPUTE_PGM_RSRC2:TGID_Z_EN: 0
; COMPUTE_PGM_RSRC2:TIDIG_COMP_CNT: 0
	.type	__hip_cuid_f58d07c0f36f4d03,@object ; @__hip_cuid_f58d07c0f36f4d03
	.section	.bss,"aw",@nobits
	.globl	__hip_cuid_f58d07c0f36f4d03
__hip_cuid_f58d07c0f36f4d03:
	.byte	0                               ; 0x0
	.size	__hip_cuid_f58d07c0f36f4d03, 1

	.ident	"AMD clang version 19.0.0git (https://github.com/RadeonOpenCompute/llvm-project roc-6.4.0 25133 c7fe45cf4b819c5991fe208aaa96edf142730f1d)"
	.section	".note.GNU-stack","",@progbits
	.addrsig
	.addrsig_sym __hip_cuid_f58d07c0f36f4d03
	.amdgpu_metadata
---
amdhsa.kernels:
  - .args:
      - .actual_access:  read_only
        .address_space:  global
        .offset:         0
        .size:           8
        .value_kind:     global_buffer
      - .actual_access:  read_only
        .address_space:  global
        .offset:         8
        .size:           8
        .value_kind:     global_buffer
      - .actual_access:  read_only
        .address_space:  global
        .offset:         16
        .size:           8
        .value_kind:     global_buffer
      - .actual_access:  read_only
        .address_space:  global
        .offset:         24
        .size:           8
        .value_kind:     global_buffer
      - .actual_access:  read_only
        .address_space:  global
        .offset:         32
        .size:           8
        .value_kind:     global_buffer
      - .offset:         40
        .size:           8
        .value_kind:     by_value
      - .address_space:  global
        .offset:         48
        .size:           8
        .value_kind:     global_buffer
      - .address_space:  global
        .offset:         56
        .size:           8
        .value_kind:     global_buffer
      - .address_space:  global
        .offset:         64
        .size:           8
        .value_kind:     global_buffer
      - .address_space:  global
        .offset:         72
        .size:           8
        .value_kind:     global_buffer
      - .offset:         80
        .size:           4
        .value_kind:     by_value
      - .address_space:  global
        .offset:         88
        .size:           8
        .value_kind:     global_buffer
      - .address_space:  global
        .offset:         96
        .size:           8
        .value_kind:     global_buffer
    .group_segment_fixed_size: 6600
    .kernarg_segment_align: 8
    .kernarg_segment_size: 104
    .language:       OpenCL C
    .language_version:
      - 2
      - 0
    .max_flat_workgroup_size: 110
    .name:           bluestein_single_fwd_len1650_dim1_half_op_CI_CI
    .private_segment_fixed_size: 0
    .sgpr_count:     34
    .sgpr_spill_count: 0
    .symbol:         bluestein_single_fwd_len1650_dim1_half_op_CI_CI.kd
    .uniform_work_group_size: 1
    .uses_dynamic_stack: false
    .vgpr_count:     188
    .vgpr_spill_count: 0
    .wavefront_size: 64
amdhsa.target:   amdgcn-amd-amdhsa--gfx906
amdhsa.version:
  - 1
  - 2
...

	.end_amdgpu_metadata
